;; amdgpu-corpus repo=ROCm/rocFFT kind=compiled arch=gfx906 opt=O3
	.text
	.amdgcn_target "amdgcn-amd-amdhsa--gfx906"
	.amdhsa_code_object_version 6
	.protected	bluestein_single_back_len544_dim1_sp_op_CI_CI ; -- Begin function bluestein_single_back_len544_dim1_sp_op_CI_CI
	.globl	bluestein_single_back_len544_dim1_sp_op_CI_CI
	.p2align	8
	.type	bluestein_single_back_len544_dim1_sp_op_CI_CI,@function
bluestein_single_back_len544_dim1_sp_op_CI_CI: ; @bluestein_single_back_len544_dim1_sp_op_CI_CI
; %bb.0:
	v_mul_u32_u24_e32 v1, 0x788, v0
	s_load_dwordx4 s[0:3], s[4:5], 0x28
	v_lshrrev_b32_e32 v1, 16, v1
	v_mad_u64_u32 v[60:61], s[6:7], s6, 3, v[1:2]
	v_mov_b32_e32 v61, 0
	s_waitcnt lgkmcnt(0)
	v_cmp_gt_u64_e32 vcc, s[0:1], v[60:61]
	s_and_saveexec_b64 s[0:1], vcc
	s_cbranch_execz .LBB0_15
; %bb.1:
	s_mov_b32 s0, 0xaaaaaaab
	v_mul_hi_u32 v2, v60, s0
	v_mul_lo_u16_e32 v1, 34, v1
	v_sub_u16_e32 v93, v0, v1
	s_load_dwordx2 s[12:13], s[4:5], 0x0
	s_load_dwordx2 s[14:15], s[4:5], 0x38
	v_lshrrev_b32_e32 v0, 1, v2
	v_lshl_add_u32 v0, v0, 1, v0
	v_sub_u32_e32 v0, v60, v0
	v_mul_u32_u24_e32 v46, 0x220, v0
	v_or_b32_e32 v0, v46, v93
	v_cmp_gt_u16_e32 vcc, 32, v93
	v_lshlrev_b32_e32 v94, 3, v93
	v_lshlrev_b32_e32 v97, 3, v0
	v_or_b32_e32 v96, 32, v93
	v_or_b32_e32 v95, 64, v93
	s_and_saveexec_b64 s[6:7], vcc
	s_cbranch_execz .LBB0_3
; %bb.2:
	s_load_dwordx2 s[0:1], s[4:5], 0x18
	v_mov_b32_e32 v8, s3
	v_or_b32_e32 v75, 0x200, v93
	s_waitcnt lgkmcnt(0)
	s_load_dwordx4 s[8:11], s[0:1], 0x0
	s_waitcnt lgkmcnt(0)
	v_mad_u64_u32 v[0:1], s[0:1], s10, v60, 0
	v_mad_u64_u32 v[2:3], s[0:1], s8, v93, 0
	;; [unrolled: 1-line block ×5, first 2 shown]
	v_mov_b32_e32 v1, v4
	v_lshlrev_b64 v[0:1], 3, v[0:1]
	v_mov_b32_e32 v3, v5
	v_add_co_u32_e64 v73, s[0:1], s2, v0
	v_mov_b32_e32 v0, v7
	v_addc_co_u32_e64 v74, s[0:1], v8, v1, s[0:1]
	v_mad_u64_u32 v[0:1], s[0:1], s9, v96, v[0:1]
	v_mad_u64_u32 v[4:5], s[0:1], s8, v95, 0
	v_lshlrev_b64 v[2:3], 3, v[2:3]
	v_mov_b32_e32 v7, v0
	v_add_co_u32_e64 v1, s[0:1], v73, v2
	v_mov_b32_e32 v0, v5
	v_addc_co_u32_e64 v2, s[0:1], v74, v3, s[0:1]
	v_mad_u64_u32 v[8:9], s[0:1], s9, v95, v[0:1]
	v_lshlrev_b64 v[6:7], 3, v[6:7]
	v_mov_b32_e32 v5, v8
	v_add_co_u32_e64 v6, s[0:1], v73, v6
	v_lshlrev_b64 v[3:4], 3, v[4:5]
	v_or_b32_e32 v5, 0x60, v93
	v_addc_co_u32_e64 v7, s[0:1], v74, v7, s[0:1]
	v_mad_u64_u32 v[8:9], s[0:1], s8, v5, 0
	v_add_co_u32_e64 v3, s[0:1], v73, v3
	v_mov_b32_e32 v0, v9
	v_addc_co_u32_e64 v4, s[0:1], v74, v4, s[0:1]
	v_mad_u64_u32 v[9:10], s[0:1], s9, v5, v[0:1]
	v_or_b32_e32 v5, 0x80, v93
	v_mad_u64_u32 v[16:17], s[0:1], s8, v5, 0
	v_lshlrev_b64 v[8:9], 3, v[8:9]
	global_load_dwordx2 v[10:11], v94, s[12:13]
	global_load_dwordx2 v[12:13], v94, s[12:13] offset:256
	global_load_dwordx2 v[14:15], v94, s[12:13] offset:512
	v_add_co_u32_e64 v8, s[0:1], v73, v8
	v_mov_b32_e32 v0, v17
	v_addc_co_u32_e64 v9, s[0:1], v74, v9, s[0:1]
	v_mad_u64_u32 v[17:18], s[0:1], s9, v5, v[0:1]
	v_or_b32_e32 v5, 0xa0, v93
	v_mad_u64_u32 v[18:19], s[0:1], s8, v5, 0
	global_load_dwordx2 v[20:21], v[1:2], off
	global_load_dwordx2 v[22:23], v[6:7], off
	global_load_dwordx2 v[24:25], v[3:4], off
	global_load_dwordx2 v[26:27], v[8:9], off
	v_or_b32_e32 v7, 0xc0, v93
	v_mov_b32_e32 v2, v19
	v_mad_u64_u32 v[2:3], s[0:1], s9, v5, v[2:3]
	v_mad_u64_u32 v[3:4], s[0:1], s8, v7, 0
	v_lshlrev_b64 v[0:1], 3, v[16:17]
	v_mov_b32_e32 v19, v2
	v_add_co_u32_e64 v0, s[0:1], v73, v0
	v_mov_b32_e32 v2, v4
	v_addc_co_u32_e64 v1, s[0:1], v74, v1, s[0:1]
	v_mad_u64_u32 v[7:8], s[0:1], s9, v7, v[2:3]
	v_lshlrev_b64 v[5:6], 3, v[18:19]
	v_or_b32_e32 v9, 0xe0, v93
	v_add_co_u32_e64 v5, s[0:1], v73, v5
	v_addc_co_u32_e64 v6, s[0:1], v74, v6, s[0:1]
	v_mov_b32_e32 v4, v7
	v_mad_u64_u32 v[7:8], s[0:1], s8, v9, 0
	v_lshlrev_b64 v[2:3], 3, v[3:4]
	global_load_dwordx2 v[16:17], v94, s[12:13] offset:768
	global_load_dwordx2 v[18:19], v94, s[12:13] offset:1024
	;; [unrolled: 1-line block ×4, first 2 shown]
	v_add_co_u32_e64 v2, s[0:1], v73, v2
	v_mov_b32_e32 v4, v8
	v_addc_co_u32_e64 v3, s[0:1], v74, v3, s[0:1]
	v_mad_u64_u32 v[8:9], s[0:1], s9, v9, v[4:5]
	v_or_b32_e32 v9, 0x100, v93
	v_mad_u64_u32 v[32:33], s[0:1], s8, v9, 0
	v_lshlrev_b64 v[7:8], 3, v[7:8]
	v_add_co_u32_e64 v7, s[0:1], v73, v7
	v_mov_b32_e32 v4, v33
	v_addc_co_u32_e64 v8, s[0:1], v74, v8, s[0:1]
	v_mad_u64_u32 v[33:34], s[0:1], s9, v9, v[4:5]
	v_or_b32_e32 v4, 0x120, v93
	v_mad_u64_u32 v[34:35], s[0:1], s8, v4, 0
	global_load_dwordx2 v[36:37], v[0:1], off
	global_load_dwordx2 v[38:39], v[5:6], off
	;; [unrolled: 1-line block ×4, first 2 shown]
	v_or_b32_e32 v7, 0x140, v93
	v_mov_b32_e32 v2, v35
	v_mad_u64_u32 v[2:3], s[0:1], s9, v4, v[2:3]
	v_mad_u64_u32 v[3:4], s[0:1], s8, v7, 0
	v_lshlrev_b64 v[0:1], 3, v[32:33]
	v_mov_b32_e32 v35, v2
	v_add_co_u32_e64 v0, s[0:1], v73, v0
	v_mov_b32_e32 v2, v4
	v_addc_co_u32_e64 v1, s[0:1], v74, v1, s[0:1]
	v_mad_u64_u32 v[7:8], s[0:1], s9, v7, v[2:3]
	v_lshlrev_b64 v[5:6], 3, v[34:35]
	v_or_b32_e32 v9, 0x160, v93
	v_add_co_u32_e64 v5, s[0:1], v73, v5
	v_addc_co_u32_e64 v6, s[0:1], v74, v6, s[0:1]
	v_mov_b32_e32 v4, v7
	v_mad_u64_u32 v[7:8], s[0:1], s8, v9, 0
	v_lshlrev_b64 v[2:3], 3, v[3:4]
	global_load_dwordx2 v[32:33], v94, s[12:13] offset:1792
	global_load_dwordx2 v[34:35], v94, s[12:13] offset:2048
	global_load_dwordx2 v[44:45], v94, s[12:13] offset:2304
	global_load_dwordx2 v[47:48], v94, s[12:13] offset:2560
	v_add_co_u32_e64 v2, s[0:1], v73, v2
	v_mov_b32_e32 v4, v8
	v_addc_co_u32_e64 v3, s[0:1], v74, v3, s[0:1]
	v_mad_u64_u32 v[8:9], s[0:1], s9, v9, v[4:5]
	v_or_b32_e32 v9, 0x180, v93
	v_mad_u64_u32 v[49:50], s[0:1], s8, v9, 0
	v_lshlrev_b64 v[7:8], 3, v[7:8]
	v_add_co_u32_e64 v7, s[0:1], v73, v7
	v_mov_b32_e32 v4, v50
	v_addc_co_u32_e64 v8, s[0:1], v74, v8, s[0:1]
	v_mad_u64_u32 v[50:51], s[0:1], s9, v9, v[4:5]
	v_or_b32_e32 v4, 0x1a0, v93
	global_load_dwordx2 v[51:52], v[0:1], off
	global_load_dwordx2 v[53:54], v[5:6], off
	;; [unrolled: 1-line block ×4, first 2 shown]
	v_mad_u64_u32 v[2:3], s[0:1], s8, v4, 0
	v_lshlrev_b64 v[0:1], 3, v[49:50]
	v_or_b32_e32 v6, 0x1c0, v93
	v_add_co_u32_e64 v0, s[0:1], v73, v0
	v_addc_co_u32_e64 v1, s[0:1], v74, v1, s[0:1]
	v_mad_u64_u32 v[3:4], s[0:1], s9, v4, v[3:4]
	v_mad_u64_u32 v[4:5], s[0:1], s8, v6, 0
	v_lshlrev_b64 v[2:3], 3, v[2:3]
	v_or_b32_e32 v8, 0x1e0, v93
	v_mad_u64_u32 v[5:6], s[0:1], s9, v6, v[5:6]
	v_add_co_u32_e64 v2, s[0:1], v73, v2
	v_addc_co_u32_e64 v3, s[0:1], v74, v3, s[0:1]
	v_mad_u64_u32 v[6:7], s[0:1], s8, v8, 0
	v_lshlrev_b64 v[4:5], 3, v[4:5]
	global_load_dwordx2 v[0:1], v[0:1], off
	v_add_co_u32_e64 v4, s[0:1], v73, v4
	v_addc_co_u32_e64 v5, s[0:1], v74, v5, s[0:1]
	v_mad_u64_u32 v[7:8], s[0:1], s9, v8, v[7:8]
	v_mad_u64_u32 v[65:66], s[0:1], s8, v75, 0
	v_lshlrev_b64 v[6:7], 3, v[6:7]
	global_load_dwordx2 v[8:9], v94, s[12:13] offset:2816
	global_load_dwordx2 v[49:50], v94, s[12:13] offset:3072
	;; [unrolled: 1-line block ×4, first 2 shown]
	v_add_co_u32_e64 v6, s[0:1], v73, v6
	v_mov_b32_e32 v59, v66
	v_addc_co_u32_e64 v7, s[0:1], v74, v7, s[0:1]
	v_mad_u64_u32 v[66:67], s[0:1], s9, v75, v[59:60]
	global_load_dwordx2 v[2:3], v[2:3], off
	s_nop 0
	global_load_dwordx2 v[67:68], v[4:5], off
	global_load_dwordx2 v[69:70], v[6:7], off
	global_load_dwordx2 v[71:72], v94, s[12:13] offset:3840
	v_lshlrev_b64 v[4:5], 3, v[65:66]
	v_lshlrev_b32_e32 v6, 3, v75
	v_add_co_u32_e64 v4, s[0:1], v73, v4
	v_addc_co_u32_e64 v5, s[0:1], v74, v5, s[0:1]
	global_load_dwordx2 v[4:5], v[4:5], off
	s_waitcnt vmcnt(29)
	v_mul_f32_e32 v65, v21, v11
	global_load_dwordx2 v[6:7], v6, s[12:13]
	v_mul_f32_e32 v11, v20, v11
	v_fmac_f32_e32 v65, v20, v10
	v_fma_f32 v66, v21, v10, -v11
	s_waitcnt vmcnt(29)
	v_mul_f32_e32 v10, v23, v13
	v_mul_f32_e32 v11, v22, v13
	v_fmac_f32_e32 v10, v22, v12
	v_fma_f32 v11, v23, v12, -v11
	s_waitcnt vmcnt(28)
	v_mul_f32_e32 v12, v25, v15
	v_mul_f32_e32 v13, v24, v15
	v_lshl_add_u32 v20, v46, 3, v94
	v_fmac_f32_e32 v12, v24, v14
	v_fma_f32 v13, v25, v14, -v13
	ds_write_b64 v97, v[65:66]
	ds_write2_b64 v20, v[10:11], v[12:13] offset0:32 offset1:64
	s_waitcnt vmcnt(26)
	v_mul_f32_e32 v10, v27, v17
	v_mul_f32_e32 v11, v26, v17
	s_waitcnt vmcnt(22)
	v_mul_f32_e32 v12, v37, v19
	v_mul_f32_e32 v13, v36, v19
	v_fmac_f32_e32 v10, v26, v16
	v_fma_f32 v11, v27, v16, -v11
	v_fmac_f32_e32 v12, v36, v18
	v_fma_f32 v13, v37, v18, -v13
	ds_write2_b64 v20, v[10:11], v[12:13] offset0:96 offset1:128
	s_waitcnt vmcnt(21)
	v_mul_f32_e32 v10, v39, v29
	v_mul_f32_e32 v11, v38, v29
	s_waitcnt vmcnt(20)
	v_mul_f32_e32 v12, v41, v31
	v_mul_f32_e32 v13, v40, v31
	v_fmac_f32_e32 v10, v38, v28
	v_fma_f32 v11, v39, v28, -v11
	v_fmac_f32_e32 v12, v40, v30
	v_fma_f32 v13, v41, v30, -v13
	;; [unrolled: 11-line block ×3, first 2 shown]
	v_add_u32_e32 v14, 0x400, v20
	ds_write2_b64 v14, v[10:11], v[12:13] offset0:96 offset1:128
	s_waitcnt vmcnt(13)
	v_mul_f32_e32 v10, v54, v45
	v_mul_f32_e32 v11, v53, v45
	s_waitcnt vmcnt(12)
	v_mul_f32_e32 v12, v56, v48
	v_mul_f32_e32 v13, v55, v48
	v_fmac_f32_e32 v10, v53, v44
	v_fma_f32 v11, v54, v44, -v11
	v_fmac_f32_e32 v12, v55, v47
	v_fma_f32 v13, v56, v47, -v13
	v_add_u32_e32 v14, 0x800, v20
	ds_write2_b64 v14, v[10:11], v[12:13] offset0:32 offset1:64
	s_waitcnt vmcnt(9)
	v_mul_f32_e32 v10, v58, v9
	v_mul_f32_e32 v9, v57, v9
	v_fmac_f32_e32 v10, v57, v8
	v_fma_f32 v11, v58, v8, -v9
	s_waitcnt vmcnt(8)
	v_mul_f32_e32 v8, v1, v50
	v_fmac_f32_e32 v8, v0, v49
	v_mul_f32_e32 v0, v0, v50
	v_fma_f32 v9, v1, v49, -v0
	ds_write2_b64 v14, v[10:11], v[8:9] offset0:96 offset1:128
	s_waitcnt vmcnt(5)
	v_mul_f32_e32 v0, v3, v62
	v_mul_f32_e32 v1, v2, v62
	v_fmac_f32_e32 v0, v2, v61
	v_fma_f32 v1, v3, v61, -v1
	s_waitcnt vmcnt(4)
	v_mul_f32_e32 v2, v68, v64
	v_mul_f32_e32 v3, v67, v64
	v_fmac_f32_e32 v2, v67, v63
	v_fma_f32 v3, v68, v63, -v3
	ds_write2_b64 v14, v[0:1], v[2:3] offset0:160 offset1:192
	s_waitcnt vmcnt(2)
	v_mul_f32_e32 v0, v70, v72
	v_mul_f32_e32 v1, v69, v72
	s_waitcnt vmcnt(0)
	v_mul_f32_e32 v2, v5, v7
	v_mul_f32_e32 v3, v4, v7
	v_fmac_f32_e32 v0, v69, v71
	v_fma_f32 v1, v70, v71, -v1
	v_fmac_f32_e32 v2, v4, v6
	v_fma_f32 v3, v5, v6, -v3
	v_add_u32_e32 v4, 0xc00, v20
	ds_write2_b64 v4, v[0:1], v[2:3] offset0:96 offset1:128
.LBB0_3:
	s_or_b64 exec, exec, s[6:7]
	s_load_dwordx2 s[0:1], s[4:5], 0x20
	s_load_dwordx2 s[2:3], s[4:5], 0x8
	v_mov_b32_e32 v0, 0
	v_mov_b32_e32 v1, 0
	v_lshlrev_b32_e32 v98, 3, v46
	s_waitcnt lgkmcnt(0)
	s_barrier
	s_waitcnt lgkmcnt(0)
                                        ; implicit-def: $vgpr32
                                        ; implicit-def: $vgpr30
                                        ; implicit-def: $vgpr26
                                        ; implicit-def: $vgpr22
                                        ; implicit-def: $vgpr18
                                        ; implicit-def: $vgpr14
                                        ; implicit-def: $vgpr10
                                        ; implicit-def: $vgpr6
	s_and_saveexec_b64 s[4:5], vcc
	s_cbranch_execz .LBB0_5
; %bb.4:
	v_lshl_add_u32 v2, v93, 3, v98
	v_add_u32_e32 v3, 0x400, v2
	ds_read_b64 v[0:1], v97
	ds_read2_b64 v[4:7], v2 offset0:32 offset1:64
	ds_read2_b64 v[8:11], v2 offset0:96 offset1:128
	ds_read2_b64 v[12:15], v2 offset0:160 offset1:192
	ds_read2_b64 v[16:19], v3 offset0:96 offset1:128
	v_add_u32_e32 v3, 0x800, v2
	ds_read2_b64 v[20:23], v3 offset0:32 offset1:64
	ds_read2_b64 v[24:27], v3 offset0:96 offset1:128
	ds_read2_b64 v[28:31], v3 offset0:160 offset1:192
	v_add_u32_e32 v2, 0xc00, v2
	ds_read2_b64 v[32:35], v2 offset0:96 offset1:128
.LBB0_5:
	s_or_b64 exec, exec, s[4:5]
	s_waitcnt lgkmcnt(0)
	v_sub_f32_e32 v75, v5, v35
	v_mul_f32_e32 v62, 0xbeb8f4ab, v75
	v_sub_f32_e32 v78, v7, v33
	v_add_f32_e32 v47, v34, v4
	v_sub_f32_e32 v84, v4, v34
	v_mov_b32_e32 v2, v62
	v_mul_f32_e32 v64, 0xbf2c7751, v78
	v_add_f32_e32 v49, v35, v5
	s_mov_b32 s6, 0x3f6eb680
	v_mul_f32_e32 v68, 0xbeb8f4ab, v84
	v_fmac_f32_e32 v2, 0x3f6eb680, v47
	v_add_f32_e32 v48, v32, v6
	v_sub_f32_e32 v86, v6, v32
	v_mov_b32_e32 v36, v64
	v_add_f32_e32 v2, v2, v0
	v_fma_f32 v3, v49, s6, -v68
	v_add_f32_e32 v52, v33, v7
	s_mov_b32 s7, 0x3f3d2fb0
	v_mul_f32_e32 v70, 0xbf2c7751, v86
	v_fmac_f32_e32 v36, 0x3f3d2fb0, v48
	v_sub_f32_e32 v81, v9, v31
	v_add_f32_e32 v3, v3, v1
	v_add_f32_e32 v2, v36, v2
	v_fma_f32 v36, v52, s7, -v70
	v_mul_f32_e32 v65, 0xbf65296c, v81
	v_add_f32_e32 v3, v36, v3
	v_add_f32_e32 v50, v30, v8
	v_sub_f32_e32 v88, v8, v30
	v_mov_b32_e32 v36, v65
	v_add_f32_e32 v54, v31, v9
	s_mov_b32 s8, 0x3ee437d1
	v_mul_f32_e32 v71, 0xbf65296c, v88
	v_fmac_f32_e32 v36, 0x3ee437d1, v50
	v_sub_f32_e32 v82, v11, v29
	v_add_f32_e32 v2, v36, v2
	v_fma_f32 v36, v54, s8, -v71
	v_mul_f32_e32 v67, 0xbf7ee86f, v82
	v_add_f32_e32 v3, v36, v3
	v_add_f32_e32 v51, v28, v10
	v_sub_f32_e32 v90, v10, v28
	v_mov_b32_e32 v36, v67
	v_add_f32_e32 v56, v29, v11
	s_mov_b32 s9, 0x3dbcf732
	v_mul_f32_e32 v73, 0xbf7ee86f, v90
	v_fmac_f32_e32 v36, 0x3dbcf732, v51
	v_sub_f32_e32 v85, v13, v27
	;; [unrolled: 12-line block ×5, first 2 shown]
	v_add_f32_e32 v2, v36, v2
	v_fma_f32 v36, v63, s16, -v80
	v_mul_f32_e32 v77, 0xbe3c28d5, v92
	v_sub_f32_e32 v101, v18, v20
	v_add_f32_e32 v3, v36, v3
	v_add_f32_e32 v59, v20, v18
	s_mov_b32 s17, 0xbf7ba420
	v_mov_b32_e32 v36, v77
	v_add_f32_e32 v66, v21, v19
	v_mul_f32_e32 v83, 0xbe3c28d5, v101
	v_fmac_f32_e32 v36, 0xbf7ba420, v59
	v_fma_f32 v37, v66, s17, -v83
	v_add_f32_e32 v2, v36, v2
	v_add_f32_e32 v3, v37, v3
	s_barrier
	s_and_saveexec_b64 s[4:5], vcc
	s_cbranch_execz .LBB0_7
; %bb.6:
	v_mul_f32_e32 v103, 0x3ee437d1, v49
	v_mov_b32_e32 v36, v103
	v_mul_f32_e32 v104, 0xbf1a4643, v52
	v_fmac_f32_e32 v36, 0x3f65296c, v84
	v_mov_b32_e32 v37, v104
	v_add_f32_e32 v36, v36, v1
	v_fmac_f32_e32 v37, 0x3f4c4adb, v86
	v_mul_f32_e32 v105, 0xbf7ba420, v54
	v_add_f32_e32 v36, v37, v36
	v_mov_b32_e32 v37, v105
	v_fmac_f32_e32 v37, 0xbe3c28d5, v88
	v_mul_f32_e32 v106, 0xbe8c1d8e, v56
	v_add_f32_e32 v36, v37, v36
	v_mov_b32_e32 v37, v106
	;; [unrolled: 4-line block ×7, first 2 shown]
	v_mul_f32_e32 v111, 0xbf4c4adb, v78
	v_fmac_f32_e32 v36, 0x3ee437d1, v47
	v_mov_b32_e32 v38, v111
	v_add_f32_e32 v36, v36, v0
	v_fmac_f32_e32 v38, 0xbf1a4643, v48
	v_mul_f32_e32 v112, 0x3e3c28d5, v81
	v_add_f32_e32 v36, v38, v36
	v_mov_b32_e32 v38, v112
	v_fmac_f32_e32 v38, 0xbf7ba420, v50
	v_mul_f32_e32 v114, 0x3f763a35, v82
	v_add_f32_e32 v36, v38, v36
	v_mov_b32_e32 v38, v114
	v_fmac_f32_e32 v38, 0xbe8c1d8e, v51
	v_mul_f32_e32 v115, 0x3f2c7751, v85
	v_add_f32_e32 v36, v38, v36
	v_mov_b32_e32 v38, v115
	v_fmac_f32_e32 v38, 0x3f3d2fb0, v53
	v_mul_f32_e32 v113, 0xbeb8f4ab, v87
	v_add_f32_e32 v36, v38, v36
	v_mov_b32_e32 v38, v113
	v_fmac_f32_e32 v38, 0x3f6eb680, v55
	v_mul_f32_e32 v116, 0xbf7ee86f, v89
	v_add_f32_e32 v36, v38, v36
	v_mov_b32_e32 v38, v116
	v_fmac_f32_e32 v38, 0x3dbcf732, v57
	v_mul_f32_e32 v117, 0xbf06c442, v92
	v_add_f32_e32 v36, v38, v36
	v_mov_b32_e32 v38, v117
	v_fmac_f32_e32 v38, 0xbf59a7d5, v59
	v_mul_f32_e32 v128, 0x3dbcf732, v49
	v_add_f32_e32 v36, v38, v36
	v_mov_b32_e32 v38, v128
	v_mul_f32_e32 v129, 0xbf7ba420, v52
	v_fmac_f32_e32 v38, 0x3f7ee86f, v84
	v_mov_b32_e32 v39, v129
	v_add_f32_e32 v38, v38, v1
	v_fmac_f32_e32 v39, 0x3e3c28d5, v86
	v_mul_f32_e32 v130, 0xbe8c1d8e, v54
	v_add_f32_e32 v38, v39, v38
	v_mov_b32_e32 v39, v130
	v_fmac_f32_e32 v39, 0xbf763a35, v88
	v_mul_f32_e32 v131, 0x3f6eb680, v56
	v_add_f32_e32 v38, v39, v38
	v_mov_b32_e32 v39, v131
	v_fmac_f32_e32 v39, 0xbeb8f4ab, v90
	v_mul_f32_e32 v132, 0x3ee437d1, v58
	v_add_f32_e32 v38, v39, v38
	v_mov_b32_e32 v39, v132
	v_fmac_f32_e32 v39, 0x3f65296c, v91
	v_mul_f32_e32 v133, 0xbf59a7d5, v61
	v_add_f32_e32 v38, v39, v38
	v_mov_b32_e32 v39, v133
	v_fmac_f32_e32 v39, 0x3f06c442, v99
	v_mul_f32_e32 v134, 0xbf1a4643, v63
	v_add_f32_e32 v38, v39, v38
	v_mov_b32_e32 v39, v134
	v_fmac_f32_e32 v39, 0xbf4c4adb, v100
	v_mul_f32_e32 v135, 0xbf7ee86f, v75
	v_add_f32_e32 v38, v39, v38
	v_mov_b32_e32 v39, v135
	v_mul_f32_e32 v136, 0xbe3c28d5, v78
	v_fmac_f32_e32 v39, 0x3dbcf732, v47
	v_mov_b32_e32 v40, v136
	v_add_f32_e32 v39, v39, v0
	v_fmac_f32_e32 v40, 0xbf7ba420, v48
	v_mul_f32_e32 v137, 0x3f763a35, v81
	v_add_f32_e32 v39, v40, v39
	v_mov_b32_e32 v40, v137
	v_fmac_f32_e32 v40, 0xbe8c1d8e, v50
	v_mul_f32_e32 v138, 0x3eb8f4ab, v82
	v_add_f32_e32 v39, v40, v39
	v_mov_b32_e32 v40, v138
	v_fmac_f32_e32 v40, 0x3f6eb680, v51
	v_mul_f32_e32 v139, 0xbf65296c, v85
	v_add_f32_e32 v39, v40, v39
	v_mov_b32_e32 v40, v139
	v_fmac_f32_e32 v40, 0x3ee437d1, v53
	v_mul_f32_e32 v140, 0xbf06c442, v87
	v_add_f32_e32 v39, v40, v39
	v_mov_b32_e32 v40, v140
	v_fmac_f32_e32 v40, 0xbf59a7d5, v55
	v_mul_f32_e32 v141, 0x3f4c4adb, v89
	v_add_f32_e32 v39, v40, v39
	v_mov_b32_e32 v40, v141
	v_fmac_f32_e32 v40, 0xbf1a4643, v57
	v_mul_f32_e32 v142, 0x3f3d2fb0, v66
	v_add_f32_e32 v40, v40, v39
	v_mov_b32_e32 v39, v142
	v_fmac_f32_e32 v39, 0xbf2c7751, v101
	v_mul_f32_e32 v143, 0x3f2c7751, v92
	v_add_f32_e32 v39, v39, v38
	v_mov_b32_e32 v38, v143
	v_fmac_f32_e32 v38, 0x3f3d2fb0, v59
	v_mul_f32_e32 v126, 0xbe8c1d8e, v49
	v_add_f32_e32 v38, v38, v40
	v_mov_b32_e32 v40, v126
	v_mul_f32_e32 v127, 0xbf59a7d5, v52
	v_fmac_f32_e32 v40, 0x3f763a35, v84
	v_mov_b32_e32 v41, v127
	v_add_f32_e32 v40, v40, v1
	v_fmac_f32_e32 v41, 0xbf06c442, v86
	v_mul_f32_e32 v144, 0x3f3d2fb0, v54
	v_add_f32_e32 v40, v41, v40
	v_mov_b32_e32 v41, v144
	v_fmac_f32_e32 v41, 0xbf2c7751, v88
	v_mul_f32_e32 v145, 0x3ee437d1, v56
	v_add_f32_e32 v40, v41, v40
	v_mov_b32_e32 v41, v145
	v_fmac_f32_e32 v41, 0x3f65296c, v90
	v_mul_f32_e32 v146, 0xbf7ba420, v58
	v_add_f32_e32 v40, v41, v40
	v_mov_b32_e32 v41, v146
	v_fmac_f32_e32 v41, 0x3e3c28d5, v91
	v_mul_f32_e32 v147, 0x3dbcf732, v61
	v_add_f32_e32 v40, v41, v40
	v_mov_b32_e32 v41, v147
	v_fmac_f32_e32 v41, 0xbf7ee86f, v99
	v_mul_f32_e32 v148, 0x3f6eb680, v63
	v_add_f32_e32 v40, v41, v40
	v_mov_b32_e32 v41, v148
	v_fmac_f32_e32 v41, 0x3eb8f4ab, v100
	v_mul_f32_e32 v149, 0xbf763a35, v75
	v_add_f32_e32 v40, v41, v40
	v_mov_b32_e32 v41, v149
	v_mul_f32_e32 v150, 0x3f06c442, v78
	v_fmac_f32_e32 v41, 0xbe8c1d8e, v47
	v_mov_b32_e32 v42, v150
	v_add_f32_e32 v41, v41, v0
	v_fmac_f32_e32 v42, 0xbf59a7d5, v48
	v_mul_f32_e32 v151, 0x3f2c7751, v81
	v_add_f32_e32 v41, v42, v41
	v_mov_b32_e32 v42, v151
	;; [unrolled: 64-line block ×4, first 2 shown]
	v_fmac_f32_e32 v118, 0x3dbcf732, v50
	v_mul_f32_e32 v180, 0x3f4c4adb, v82
	v_add_f32_e32 v45, v118, v45
	v_mov_b32_e32 v118, v180
	v_fmac_f32_e32 v118, 0xbf1a4643, v51
	v_mul_f32_e32 v181, 0xbeb8f4ab, v85
	v_add_f32_e32 v45, v118, v45
	v_mov_b32_e32 v118, v181
	;; [unrolled: 4-line block ×7, first 2 shown]
	v_mul_f32_e32 v121, 0x3f6eb680, v52
	v_fmac_f32_e32 v118, 0x3e3c28d5, v84
	v_mov_b32_e32 v119, v121
	v_add_f32_e32 v118, v118, v1
	v_fmac_f32_e32 v119, 0xbeb8f4ab, v86
	v_mul_f32_e32 v186, 0xbf59a7d5, v54
	v_add_f32_e32 v118, v119, v118
	v_mov_b32_e32 v119, v186
	v_fmac_f32_e32 v119, 0x3f06c442, v88
	v_mul_f32_e32 v187, 0x3f3d2fb0, v56
	v_add_f32_e32 v118, v119, v118
	v_mov_b32_e32 v119, v187
	;; [unrolled: 4-line block ×4, first 2 shown]
	v_fmac_f32_e32 v103, 0xbf65296c, v84
	v_fmac_f32_e32 v119, 0xbf65296c, v99
	v_mul_f32_e32 v190, 0xbe8c1d8e, v63
	v_add_f32_e32 v103, v103, v1
	v_fmac_f32_e32 v104, 0xbf4c4adb, v86
	v_add_f32_e32 v118, v119, v118
	v_mov_b32_e32 v119, v190
	v_add_f32_e32 v103, v104, v103
	v_fmac_f32_e32 v105, 0x3e3c28d5, v88
	v_fmac_f32_e32 v119, 0x3f763a35, v100
	v_mul_f32_e32 v191, 0xbe3c28d5, v75
	v_add_f32_e32 v103, v105, v103
	v_fmac_f32_e32 v106, 0x3f763a35, v90
	v_fma_f32 v104, v47, s8, -v110
	v_add_f32_e32 v118, v119, v118
	v_mov_b32_e32 v119, v191
	v_mul_f32_e32 v192, 0x3eb8f4ab, v78
	v_add_f32_e32 v103, v106, v103
	v_fmac_f32_e32 v107, 0x3f2c7751, v91
	v_add_f32_e32 v104, v104, v0
	v_fma_f32 v105, v48, s11, -v111
	v_fmac_f32_e32 v119, 0xbf7ba420, v47
	v_mov_b32_e32 v193, v192
	v_add_f32_e32 v103, v107, v103
	v_fmac_f32_e32 v108, 0xbeb8f4ab, v99
	v_add_f32_e32 v104, v105, v104
	v_fma_f32 v105, v50, s17, -v112
	v_add_f32_e32 v119, v119, v0
	v_fmac_f32_e32 v193, 0x3f6eb680, v48
	v_add_f32_e32 v103, v108, v103
	v_fmac_f32_e32 v109, 0xbf7ee86f, v100
	v_add_f32_e32 v104, v105, v104
	v_fma_f32 v105, v51, s10, -v114
	v_add_f32_e32 v119, v193, v119
	v_mul_f32_e32 v193, 0xbf06c442, v81
	v_add_f32_e32 v103, v109, v103
	v_add_f32_e32 v104, v105, v104
	v_fma_f32 v105, v53, s7, -v115
	v_fmac_f32_e32 v102, 0xbf06c442, v101
	v_mov_b32_e32 v194, v193
	v_add_f32_e32 v104, v105, v104
	v_add_f32_e32 v103, v102, v103
	v_fma_f32 v102, v55, s6, -v113
	v_fmac_f32_e32 v194, 0xbf59a7d5, v50
	v_add_f32_e32 v102, v102, v104
	v_fma_f32 v104, v57, s9, -v116
	v_add_f32_e32 v119, v194, v119
	v_mul_f32_e32 v194, 0x3f2c7751, v82
	v_fmac_f32_e32 v120, 0xbe3c28d5, v84
	v_fmac_f32_e32 v122, 0xbf06c442, v84
	;; [unrolled: 1-line block ×5, first 2 shown]
	v_add_f32_e32 v102, v104, v102
	v_fma_f32 v104, v59, s16, -v117
	v_mul_f32_e32 v84, 0xbf2c7751, v84
	v_mov_b32_e32 v195, v194
	v_add_f32_e32 v102, v104, v102
	v_mov_b32_e32 v104, v84
	v_mul_f32_e32 v106, 0xbf7ee86f, v86
	v_fmac_f32_e32 v195, 0x3f3d2fb0, v51
	v_fmac_f32_e32 v121, 0x3eb8f4ab, v86
	;; [unrolled: 1-line block ×7, first 2 shown]
	v_mov_b32_e32 v86, v106
	v_add_f32_e32 v119, v195, v119
	v_mul_f32_e32 v195, 0xbf4c4adb, v85
	v_fmac_f32_e32 v186, 0xbf06c442, v88
	v_fmac_f32_e32 v172, 0xbf7ee86f, v88
	;; [unrolled: 1-line block ×5, first 2 shown]
	v_add_f32_e32 v104, v104, v1
	v_fmac_f32_e32 v86, 0x3dbcf732, v52
	v_mul_f32_e32 v88, 0xbf4c4adb, v88
	v_mov_b32_e32 v196, v195
	v_add_f32_e32 v86, v86, v104
	v_mov_b32_e32 v104, v88
	v_fmac_f32_e32 v196, 0xbf1a4643, v53
	v_fmac_f32_e32 v187, 0x3f2c7751, v90
	;; [unrolled: 1-line block ×7, first 2 shown]
	v_mul_f32_e32 v90, 0xbe3c28d5, v90
	v_add_f32_e32 v119, v196, v119
	v_mul_f32_e32 v196, 0x3f65296c, v87
	v_add_f32_e32 v86, v104, v86
	v_mov_b32_e32 v104, v90
	v_mov_b32_e32 v197, v196
	v_fmac_f32_e32 v188, 0xbf4c4adb, v91
	v_fmac_f32_e32 v174, 0xbeb8f4ab, v91
	;; [unrolled: 1-line block ×6, first 2 shown]
	v_mul_f32_e32 v91, 0x3f06c442, v91
	v_fmac_f32_e32 v197, 0x3ee437d1, v55
	v_add_f32_e32 v86, v104, v86
	v_mov_b32_e32 v104, v91
	v_add_f32_e32 v119, v197, v119
	v_mul_f32_e32 v197, 0xbf763a35, v89
	v_fmac_f32_e32 v189, 0x3f65296c, v99
	v_fmac_f32_e32 v175, 0xbe3c28d5, v99
	;; [unrolled: 1-line block ×6, first 2 shown]
	v_mul_f32_e32 v99, 0x3f763a35, v99
	v_mov_b32_e32 v198, v197
	v_add_f32_e32 v86, v104, v86
	v_mov_b32_e32 v104, v99
	v_fmac_f32_e32 v198, 0xbe8c1d8e, v57
	v_mul_f32_e32 v199, 0x3dbcf732, v66
	v_fmac_f32_e32 v190, 0xbf763a35, v100
	v_fmac_f32_e32 v176, 0x3f2c7751, v100
	;; [unrolled: 1-line block ×6, first 2 shown]
	v_mul_f32_e32 v100, 0x3f65296c, v100
	v_add_f32_e32 v198, v198, v119
	v_mov_b32_e32 v119, v199
	v_add_f32_e32 v86, v104, v86
	v_mov_b32_e32 v104, v100
	v_fmac_f32_e32 v119, 0xbf7ee86f, v101
	v_fmac_f32_e32 v199, 0x3f7ee86f, v101
	v_fmac_f32_e32 v184, 0xbf763a35, v101
	v_fmac_f32_e32 v170, 0x3f65296c, v101
	v_fmac_f32_e32 v156, 0xbf4c4adb, v101
	v_fmac_f32_e32 v142, 0x3f2c7751, v101
	v_fmac_f32_e32 v104, 0x3ee437d1, v63
	v_mul_f32_e32 v101, 0x3eb8f4ab, v101
	v_add_f32_e32 v86, v104, v86
	v_mov_b32_e32 v104, v101
	v_fmac_f32_e32 v104, 0x3f6eb680, v66
	v_mul_f32_e32 v75, 0xbf2c7751, v75
	v_add_f32_e32 v86, v104, v86
	v_fma_f32 v104, v47, s7, -v75
	v_mul_f32_e32 v78, 0xbf7ee86f, v78
	v_add_f32_e32 v104, v104, v0
	v_fma_f32 v107, v48, s9, -v78
	;; [unrolled: 3-line block ×4, first 2 shown]
	v_add_f32_e32 v104, v107, v104
	v_mul_f32_e32 v107, 0x3f06c442, v85
	v_fma_f32 v85, v53, s16, -v107
	v_mul_f32_e32 v87, 0x3f763a35, v87
	v_add_f32_e32 v85, v85, v104
	v_fma_f32 v104, v55, s10, -v87
	v_mul_f32_e32 v89, 0x3f65296c, v89
	v_mul_f32_e32 v200, 0x3f7ee86f, v92
	v_add_f32_e32 v85, v104, v85
	v_fma_f32 v104, v57, s8, -v89
	v_mul_f32_e32 v92, 0x3eb8f4ab, v92
	v_add_f32_e32 v85, v104, v85
	v_fma_f32 v104, v59, s6, -v92
	v_add_f32_e32 v85, v104, v85
	v_mul_f32_e32 v104, 0x3f6eb680, v49
	v_add_f32_e32 v5, v5, v1
	v_add_f32_e32 v4, v4, v0
	;; [unrolled: 1-line block ×3, first 2 shown]
	v_mul_f32_e32 v104, 0x3f3d2fb0, v52
	v_add_f32_e32 v5, v7, v5
	v_add_f32_e32 v4, v6, v4
	;; [unrolled: 1-line block ×7, first 2 shown]
	v_mul_f32_e32 v70, 0x3ee437d1, v54
	v_add_f32_e32 v5, v11, v5
	v_add_f32_e32 v4, v10, v4
	;; [unrolled: 1-line block ×6, first 2 shown]
	v_mul_f32_e32 v70, 0x3dbcf732, v56
	v_add_f32_e32 v5, v15, v5
	v_add_f32_e32 v4, v14, v4
	v_mul_f32_e32 v105, 0x3f6eb680, v47
	v_add_f32_e32 v70, v73, v70
	v_add_f32_e32 v5, v17, v5
	;; [unrolled: 1-line block ×3, first 2 shown]
	v_fma_f32 v6, v49, s7, -v84
	v_add_f32_e32 v120, v120, v1
	v_add_f32_e32 v122, v122, v1
	;; [unrolled: 1-line block ×5, first 2 shown]
	v_mul_f32_e32 v108, 0x3f3d2fb0, v48
	v_add_f32_e32 v68, v70, v68
	v_mul_f32_e32 v70, 0xbe8c1d8e, v58
	v_sub_f32_e32 v62, v105, v62
	v_add_f32_e32 v5, v19, v5
	v_add_f32_e32 v4, v18, v4
	;; [unrolled: 1-line block ×3, first 2 shown]
	v_fma_f32 v6, v52, s9, -v106
	v_add_f32_e32 v120, v121, v120
	v_fma_f32 v121, v47, s17, -v191
	v_add_f32_e32 v122, v123, v122
	;; [unrolled: 2-line block ×5, first 2 shown]
	v_fma_f32 v129, v47, s9, -v135
	v_mul_f32_e32 v104, 0x3ee437d1, v50
	v_add_f32_e32 v70, v76, v70
	v_add_f32_e32 v62, v62, v0
	v_sub_f32_e32 v64, v108, v64
	v_add_f32_e32 v5, v21, v5
	v_add_f32_e32 v4, v20, v4
	;; [unrolled: 1-line block ×3, first 2 shown]
	v_fma_f32 v6, v54, s11, -v88
	v_fmac_f32_e32 v75, 0x3f3d2fb0, v47
	v_add_f32_e32 v120, v186, v120
	v_add_f32_e32 v121, v121, v0
	v_fma_f32 v186, v48, s6, -v192
	v_add_f32_e32 v122, v172, v122
	v_add_f32_e32 v123, v123, v0
	v_fma_f32 v172, v48, s8, -v178
	;; [unrolled: 3-line block ×5, first 2 shown]
	v_mul_f32_e32 v71, 0x3dbcf732, v51
	v_add_f32_e32 v68, v70, v68
	v_mul_f32_e32 v70, 0xbf1a4643, v61
	v_add_f32_e32 v62, v64, v62
	v_sub_f32_e32 v64, v104, v65
	v_add_f32_e32 v5, v23, v5
	v_add_f32_e32 v4, v22, v4
	;; [unrolled: 1-line block ×3, first 2 shown]
	v_fma_f32 v6, v56, s17, -v90
	v_add_f32_e32 v0, v75, v0
	v_fmac_f32_e32 v78, 0x3dbcf732, v48
	v_add_f32_e32 v121, v186, v121
	v_fma_f32 v186, v50, s16, -v193
	v_add_f32_e32 v123, v172, v123
	v_fma_f32 v172, v50, s9, -v179
	;; [unrolled: 2-line block ×5, first 2 shown]
	v_mul_f32_e32 v73, 0xbe8c1d8e, v53
	v_add_f32_e32 v70, v79, v70
	v_add_f32_e32 v62, v64, v62
	v_sub_f32_e32 v64, v71, v67
	v_add_f32_e32 v5, v25, v5
	v_add_f32_e32 v4, v24, v4
	v_add_f32_e32 v1, v6, v1
	v_fma_f32 v6, v58, s16, -v91
	v_add_f32_e32 v0, v78, v0
	v_fmac_f32_e32 v81, 0xbf1a4643, v50
	v_add_f32_e32 v120, v187, v120
	v_add_f32_e32 v121, v186, v121
	v_fma_f32 v186, v51, s7, -v194
	v_add_f32_e32 v122, v173, v122
	v_add_f32_e32 v123, v172, v123
	v_fma_f32 v172, v51, s11, -v180
	;; [unrolled: 3-line block ×5, first 2 shown]
	v_mul_f32_e32 v76, 0xbf1a4643, v55
	v_add_f32_e32 v68, v70, v68
	v_mul_f32_e32 v70, 0xbf59a7d5, v63
	v_add_f32_e32 v62, v64, v62
	v_sub_f32_e32 v64, v73, v69
	v_add_f32_e32 v5, v27, v5
	v_add_f32_e32 v4, v26, v4
	;; [unrolled: 1-line block ×3, first 2 shown]
	v_fma_f32 v6, v61, s10, -v99
	v_add_f32_e32 v0, v81, v0
	v_fmac_f32_e32 v82, 0xbf7ba420, v51
	v_add_f32_e32 v120, v188, v120
	v_add_f32_e32 v121, v186, v121
	v_fma_f32 v186, v53, s11, -v195
	v_add_f32_e32 v122, v174, v122
	v_add_f32_e32 v123, v172, v123
	v_fma_f32 v172, v53, s6, -v181
	;; [unrolled: 3-line block ×5, first 2 shown]
	v_mul_f32_e32 v79, 0xbf59a7d5, v57
	v_add_f32_e32 v70, v80, v70
	v_add_f32_e32 v62, v64, v62
	v_sub_f32_e32 v64, v76, v72
	v_add_f32_e32 v5, v29, v5
	v_add_f32_e32 v4, v28, v4
	v_add_f32_e32 v1, v6, v1
	v_fma_f32 v6, v63, s8, -v100
	v_add_f32_e32 v0, v82, v0
	v_fmac_f32_e32 v107, 0xbf59a7d5, v53
	v_add_f32_e32 v120, v189, v120
	v_add_f32_e32 v121, v186, v121
	v_fma_f32 v186, v55, s8, -v196
	v_add_f32_e32 v122, v175, v122
	v_add_f32_e32 v123, v172, v123
	v_fma_f32 v172, v55, s17, -v182
	;; [unrolled: 3-line block ×5, first 2 shown]
	v_mul_f32_e32 v80, 0xbf7ba420, v59
	v_add_f32_e32 v68, v70, v68
	v_mul_f32_e32 v70, 0xbf7ba420, v66
	v_add_f32_e32 v62, v64, v62
	v_sub_f32_e32 v64, v79, v74
	v_add_f32_e32 v5, v31, v5
	v_add_f32_e32 v4, v30, v4
	;; [unrolled: 1-line block ×3, first 2 shown]
	v_fma_f32 v6, v66, s6, -v101
	v_add_f32_e32 v0, v107, v0
	v_fmac_f32_e32 v87, 0xbe8c1d8e, v55
	v_add_f32_e32 v119, v119, v118
	v_mov_b32_e32 v118, v200
	v_add_f32_e32 v120, v190, v120
	v_add_f32_e32 v121, v186, v121
	v_fma_f32 v186, v57, s10, -v197
	v_add_f32_e32 v122, v176, v122
	v_add_f32_e32 v123, v172, v123
	v_fma_f32 v172, v57, s7, -v183
	;; [unrolled: 3-line block ×5, first 2 shown]
	v_add_f32_e32 v70, v83, v70
	v_add_f32_e32 v62, v64, v62
	v_sub_f32_e32 v64, v80, v77
	v_add_f32_e32 v5, v33, v5
	v_add_f32_e32 v4, v32, v4
	;; [unrolled: 1-line block ×4, first 2 shown]
	v_fmac_f32_e32 v89, 0x3ee437d1, v57
	v_mul_lo_u16_e32 v6, 17, v93
	v_fmac_f32_e32 v118, 0x3dbcf732, v59
	v_add_f32_e32 v186, v186, v121
	v_add_f32_e32 v121, v199, v120
	v_fma_f32 v120, v59, s9, -v200
	v_add_f32_e32 v172, v172, v123
	v_add_f32_e32 v123, v184, v122
	v_fma_f32 v122, v59, s10, -v185
	;; [unrolled: 3-line block ×5, first 2 shown]
	v_add_f32_e32 v68, v70, v68
	v_add_f32_e32 v67, v64, v62
	;; [unrolled: 1-line block ×5, first 2 shown]
	v_fmac_f32_e32 v92, 0x3f6eb680, v59
	v_add_lshl_u32 v6, v46, v6, 3
	v_add_f32_e32 v118, v118, v198
	v_add_f32_e32 v120, v120, v186
	;; [unrolled: 1-line block ×7, first 2 shown]
	ds_write2_b64 v6, v[4:5], v[67:68] offset1:1
	ds_write2_b64 v6, v[85:86], v[102:103] offset0:2 offset1:3
	ds_write2_b64 v6, v[128:129], v[126:127] offset0:4 offset1:5
	ds_write2_b64 v6, v[124:125], v[122:123] offset0:6 offset1:7
	ds_write2_b64 v6, v[120:121], v[118:119] offset0:8 offset1:9
	ds_write2_b64 v6, v[44:45], v[42:43] offset0:10 offset1:11
	ds_write2_b64 v6, v[40:41], v[38:39] offset0:12 offset1:13
	ds_write2_b64 v6, v[36:37], v[0:1] offset0:14 offset1:15
	ds_write_b64 v6, v[2:3] offset:128
.LBB0_7:
	s_or_b64 exec, exec, s[4:5]
	s_load_dwordx4 s[4:7], s[0:1], 0x0
	s_movk_i32 s0, 0xee
	v_add_co_u32_e64 v6, s[0:1], s0, v93
	s_movk_i32 s0, 0xffef
	v_add_co_u32_e64 v0, s[0:1], s0, v93
	v_addc_co_u32_e64 v1, s[0:1], 0, -1, s[0:1]
	v_cmp_gt_u16_e64 s[0:1], 17, v93
	v_cndmask_b32_e64 v1, v1, 0, s[0:1]
	v_cndmask_b32_e64 v0, v0, v93, s[0:1]
	v_lshlrev_b64 v[4:5], 3, v[0:1]
	v_mov_b32_e32 v1, s3
	v_add_co_u32_e64 v4, s[0:1], s2, v4
	v_addc_co_u32_e64 v5, s[0:1], v1, v5, s[0:1]
	s_movk_i32 s0, 0xf1
	v_add_u16_e32 v9, 0x44, v93
	v_mul_lo_u16_sdwa v10, v9, s0 dst_sel:DWORD dst_unused:UNUSED_PAD src0_sel:BYTE_0 src1_sel:DWORD
	v_lshrrev_b16_e32 v37, 12, v10
	v_mul_lo_u16_e32 v10, 17, v37
	v_add_u16_e32 v1, 34, v93
	v_sub_u16_e32 v38, v9, v10
	v_add_u16_e32 v10, 0x66, v93
	v_mul_lo_u16_sdwa v7, v1, s0 dst_sel:DWORD dst_unused:UNUSED_PAD src0_sel:BYTE_0 src1_sel:DWORD
	v_mul_lo_u16_sdwa v11, v10, s0 dst_sel:DWORD dst_unused:UNUSED_PAD src0_sel:BYTE_0 src1_sel:DWORD
	v_lshrrev_b16_e32 v36, 12, v7
	v_lshrrev_b16_e32 v39, 12, v11
	v_mul_lo_u16_e32 v7, 17, v36
	v_mul_lo_u16_e32 v11, 17, v39
	v_sub_u16_e32 v1, v1, v7
	v_mov_b32_e32 v7, 3
	v_sub_u16_e32 v40, v10, v11
	s_waitcnt lgkmcnt(0)
	s_barrier
	v_lshlrev_b32_sdwa v8, v7, v1 dst_sel:DWORD dst_unused:UNUSED_PAD src0_sel:DWORD src1_sel:BYTE_0
	v_lshlrev_b32_sdwa v9, v7, v38 dst_sel:DWORD dst_unused:UNUSED_PAD src0_sel:DWORD src1_sel:BYTE_0
	;; [unrolled: 1-line block ×3, first 2 shown]
	global_load_dwordx2 v[67:68], v[4:5], off
	global_load_dwordx2 v[65:66], v8, s[2:3]
	global_load_dwordx2 v[63:64], v9, s[2:3]
	global_load_dwordx2 v[61:62], v10, s[2:3]
	v_add_u16_e32 v4, 0x88, v93
	v_mul_lo_u16_sdwa v5, v4, s0 dst_sel:DWORD dst_unused:UNUSED_PAD src0_sel:BYTE_0 src1_sel:DWORD
	v_lshrrev_b16_e32 v41, 12, v5
	v_mul_lo_u16_e32 v5, 17, v41
	v_sub_u16_e32 v42, v4, v5
	v_add_u16_e32 v5, 0xaa, v93
	v_mul_lo_u16_sdwa v8, v5, s0 dst_sel:DWORD dst_unused:UNUSED_PAD src0_sel:BYTE_0 src1_sel:DWORD
	v_lshrrev_b16_e32 v43, 12, v8
	v_mul_lo_u16_e32 v8, 17, v43
	v_sub_u16_e32 v44, v5, v8
	v_add_u16_e32 v8, 0xcc, v93
	v_mul_lo_u16_sdwa v9, v8, s0 dst_sel:DWORD dst_unused:UNUSED_PAD src0_sel:BYTE_0 src1_sel:DWORD
	v_lshlrev_b32_sdwa v4, v7, v42 dst_sel:DWORD dst_unused:UNUSED_PAD src0_sel:DWORD src1_sel:BYTE_0
	v_lshlrev_b32_sdwa v5, v7, v44 dst_sel:DWORD dst_unused:UNUSED_PAD src0_sel:DWORD src1_sel:BYTE_0
	v_lshrrev_b16_e32 v45, 12, v9
	global_load_dwordx2 v[71:72], v4, s[2:3]
	global_load_dwordx2 v[69:70], v5, s[2:3]
	v_mul_lo_u16_e32 v4, 17, v45
	s_mov_b32 s0, 0xf0f1
	v_sub_u16_e32 v47, v8, v4
	v_mul_u32_u24_sdwa v5, v6, s0 dst_sel:DWORD dst_unused:UNUSED_PAD src0_sel:WORD_0 src1_sel:DWORD
	v_lshlrev_b32_sdwa v4, v7, v47 dst_sel:DWORD dst_unused:UNUSED_PAD src0_sel:DWORD src1_sel:BYTE_0
	v_lshrrev_b32_e32 v48, 20, v5
	global_load_dwordx2 v[75:76], v4, s[2:3]
	v_mul_lo_u16_e32 v4, 17, v48
	v_sub_u16_e32 v49, v6, v4
	v_lshlrev_b32_e32 v4, 3, v49
	global_load_dwordx2 v[73:74], v4, s[2:3]
	v_add_lshl_u32 v100, v46, v93, 3
	ds_read2_b64 v[4:7], v100 offset1:34
	v_add_u32_e32 v79, 0x800, v100
	ds_read2_b64 v[8:11], v100 offset0:68 offset1:102
	ds_read2_b64 v[12:15], v100 offset0:136 offset1:170
	;; [unrolled: 1-line block ×7, first 2 shown]
	v_cmp_lt_u16_e64 s[0:1], 16, v93
	s_waitcnt vmcnt(0) lgkmcnt(0)
	s_barrier
	v_lshl_add_u32 v99, v93, 3, v98
	v_lshl_add_u32 v109, v93, 3, v98
	v_mul_f32_e32 v50, v17, v68
	v_mul_f32_e32 v52, v19, v66
	;; [unrolled: 1-line block ×3, first 2 shown]
	v_fma_f32 v16, v16, v67, -v50
	v_fma_f32 v50, v18, v65, -v52
	v_mul_f32_e32 v52, v18, v66
	v_sub_f32_e32 v18, v6, v50
	v_cndmask_b32_e64 v50, 0, 34, s[0:1]
	v_add_u32_e32 v0, v0, v50
	v_add_lshl_u32 v101, v46, v0, 3
	v_mad_legacy_u16 v0, v36, 34, v1
	v_and_b32_e32 v0, 0xff, v0
	v_add_lshl_u32 v102, v46, v0, 3
	v_mul_u32_u24_e32 v0, 34, v37
	v_add_u32_sdwa v0, v0, v38 dst_sel:DWORD dst_unused:UNUSED_PAD src0_sel:DWORD src1_sel:BYTE_0
	v_add_lshl_u32 v103, v46, v0, 3
	v_mul_u32_u24_e32 v0, 34, v39
	v_add_u32_sdwa v0, v0, v40 dst_sel:DWORD dst_unused:UNUSED_PAD src0_sel:DWORD src1_sel:BYTE_0
	;; [unrolled: 3-line block ×4, first 2 shown]
	v_fmac_f32_e32 v51, v17, v67
	v_mul_f32_e32 v17, v25, v64
	v_add_lshl_u32 v106, v46, v0, 3
	v_mul_u32_u24_e32 v0, 34, v45
	v_fma_f32 v53, v24, v63, -v17
	v_mul_f32_e32 v17, v27, v62
	v_add_u32_sdwa v0, v0, v47 dst_sel:DWORD dst_unused:UNUSED_PAD src0_sel:DWORD src1_sel:BYTE_0
	v_fma_f32 v55, v26, v61, -v17
	v_mul_f32_e32 v17, v29, v72
	v_add_lshl_u32 v107, v46, v0, 3
	v_mad_legacy_u16 v0, v48, 34, v49
	v_fma_f32 v57, v28, v71, -v17
	v_mul_f32_e32 v17, v31, v70
	v_add_lshl_u32 v108, v46, v0, 3
	v_mov_b32_e32 v0, s2
	v_fma_f32 v59, v30, v69, -v17
	v_mul_f32_e32 v17, v33, v76
	s_movk_i32 s0, 0x78
	v_mov_b32_e32 v1, s3
	v_mul_f32_e32 v54, v24, v64
	v_mul_f32_e32 v56, v26, v62
	;; [unrolled: 1-line block ×4, first 2 shown]
	v_fma_f32 v78, v32, v75, -v17
	v_mul_f32_e32 v80, v32, v76
	v_mul_f32_e32 v17, v35, v74
	;; [unrolled: 1-line block ×3, first 2 shown]
	v_mad_u64_u32 v[0:1], s[0:1], v93, s0, v[0:1]
	v_fmac_f32_e32 v52, v19, v65
	v_fmac_f32_e32 v54, v25, v63
	;; [unrolled: 1-line block ×6, first 2 shown]
	v_fma_f32 v81, v34, v73, -v17
	v_fmac_f32_e32 v82, v35, v73
	v_sub_f32_e32 v16, v4, v16
	v_sub_f32_e32 v17, v5, v51
	;; [unrolled: 1-line block ×15, first 2 shown]
	v_fma_f32 v4, v4, 2.0, -v16
	v_fma_f32 v5, v5, 2.0, -v17
	;; [unrolled: 1-line block ×16, first 2 shown]
	ds_write2_b64 v101, v[4:5], v[16:17] offset1:17
	ds_write2_b64 v102, v[6:7], v[18:19] offset1:17
	ds_write2_b64 v103, v[8:9], v[24:25] offset1:17
	ds_write2_b64 v104, v[10:11], v[26:27] offset1:17
	ds_write2_b64 v105, v[12:13], v[28:29] offset1:17
	ds_write2_b64 v106, v[14:15], v[30:31] offset1:17
	ds_write2_b64 v107, v[20:21], v[32:33] offset1:17
	ds_write2_b64 v108, v[22:23], v[34:35] offset1:17
	s_waitcnt lgkmcnt(0)
	s_barrier
	global_load_dwordx4 v[24:27], v[0:1], off offset:136
	global_load_dwordx4 v[16:19], v[0:1], off offset:152
	;; [unrolled: 1-line block ×7, first 2 shown]
	global_load_dwordx2 v[77:78], v[0:1], off offset:248
	ds_read2_b64 v[32:35], v100 offset1:34
	ds_read2_b64 v[36:39], v100 offset0:68 offset1:102
	ds_read2_b64 v[40:43], v100 offset0:136 offset1:170
	;; [unrolled: 1-line block ×7, first 2 shown]
	s_waitcnt vmcnt(7) lgkmcnt(7)
	v_mul_f32_e32 v0, v35, v25
	v_mul_f32_e32 v1, v34, v25
	v_fma_f32 v0, v34, v24, -v0
	v_fmac_f32_e32 v1, v35, v24
	s_waitcnt lgkmcnt(6)
	v_mul_f32_e32 v34, v37, v27
	v_mul_f32_e32 v35, v36, v27
	v_fma_f32 v34, v36, v26, -v34
	v_fmac_f32_e32 v35, v37, v26
	s_waitcnt vmcnt(6)
	v_mul_f32_e32 v36, v39, v17
	v_mul_f32_e32 v37, v38, v17
	v_fma_f32 v36, v38, v16, -v36
	v_fmac_f32_e32 v37, v39, v16
	s_waitcnt lgkmcnt(5)
	v_mul_f32_e32 v38, v41, v19
	v_mul_f32_e32 v39, v40, v19
	v_fma_f32 v38, v40, v18, -v38
	v_fmac_f32_e32 v39, v41, v18
	s_waitcnt vmcnt(5)
	;; [unrolled: 10-line block ×6, first 2 shown]
	v_mul_f32_e32 v56, v59, v13
	v_mul_f32_e32 v57, v58, v13
	v_fma_f32 v56, v58, v12, -v56
	v_fmac_f32_e32 v57, v59, v12
	s_waitcnt lgkmcnt(0)
	v_mul_f32_e32 v58, v80, v15
	v_mul_f32_e32 v59, v79, v15
	v_fma_f32 v58, v79, v14, -v58
	v_fmac_f32_e32 v59, v80, v14
	v_sub_f32_e32 v46, v32, v46
	v_sub_f32_e32 v47, v33, v47
	;; [unrolled: 1-line block ×4, first 2 shown]
	s_waitcnt vmcnt(0)
	v_mul_f32_e32 v79, v82, v78
	v_mul_f32_e32 v80, v81, v78
	v_fma_f32 v38, v38, 2.0, -v54
	v_fma_f32 v39, v39, 2.0, -v55
	v_sub_f32_e32 v50, v34, v50
	v_sub_f32_e32 v51, v35, v51
	;; [unrolled: 1-line block ×5, first 2 shown]
	v_add_f32_e32 v54, v47, v54
	v_fma_f32 v79, v81, v77, -v79
	v_fmac_f32_e32 v80, v82, v77
	v_fma_f32 v32, v32, 2.0, -v46
	v_fma_f32 v33, v33, 2.0, -v47
	;; [unrolled: 1-line block ×4, first 2 shown]
	v_sub_f32_e32 v48, v0, v48
	v_sub_f32_e32 v49, v1, v49
	;; [unrolled: 1-line block ×4, first 2 shown]
	v_fma_f32 v46, v46, 2.0, -v55
	v_fma_f32 v47, v47, 2.0, -v54
	v_sub_f32_e32 v59, v50, v59
	v_add_f32_e32 v58, v51, v58
	v_mov_b32_e32 v87, v55
	v_mov_b32_e32 v88, v54
	v_fma_f32 v34, v34, 2.0, -v50
	v_fma_f32 v35, v35, 2.0, -v51
	;; [unrolled: 1-line block ×4, first 2 shown]
	v_sub_f32_e32 v52, v36, v52
	v_sub_f32_e32 v53, v37, v53
	;; [unrolled: 1-line block ×4, first 2 shown]
	v_fma_f32 v50, v50, 2.0, -v59
	v_fma_f32 v51, v51, 2.0, -v58
	v_sub_f32_e32 v57, v48, v57
	v_add_f32_e32 v56, v49, v56
	v_mov_b32_e32 v83, v46
	v_mov_b32_e32 v84, v47
	v_fmac_f32_e32 v87, 0x3f3504f3, v59
	v_fmac_f32_e32 v88, 0x3f3504f3, v58
	v_fma_f32 v0, v0, 2.0, -v48
	v_fma_f32 v1, v1, 2.0, -v49
	;; [unrolled: 1-line block ×6, first 2 shown]
	v_sub_f32_e32 v80, v52, v80
	v_add_f32_e32 v79, v53, v79
	v_fmac_f32_e32 v83, 0xbf3504f3, v50
	v_fmac_f32_e32 v84, 0xbf3504f3, v51
	;; [unrolled: 1-line block ×4, first 2 shown]
	v_fma_f32 v36, v36, 2.0, -v52
	v_fma_f32 v37, v37, 2.0, -v53
	v_sub_f32_e32 v38, v32, v38
	v_sub_f32_e32 v39, v33, v39
	;; [unrolled: 1-line block ×4, first 2 shown]
	v_fma_f32 v52, v52, 2.0, -v80
	v_fma_f32 v53, v53, 2.0, -v79
	v_fmac_f32_e32 v83, 0xbf3504f3, v51
	v_fmac_f32_e32 v84, 0x3f3504f3, v50
	v_fma_f32 v50, v55, 2.0, -v87
	v_fma_f32 v51, v54, 2.0, -v88
	v_mov_b32_e32 v54, v48
	v_mov_b32_e32 v55, v49
	v_fma_f32 v32, v32, 2.0, -v38
	v_fma_f32 v33, v33, 2.0, -v39
	;; [unrolled: 1-line block ×4, first 2 shown]
	v_sub_f32_e32 v40, v0, v40
	v_sub_f32_e32 v41, v1, v41
	;; [unrolled: 1-line block ×4, first 2 shown]
	v_fmac_f32_e32 v54, 0xbf3504f3, v52
	v_fmac_f32_e32 v55, 0xbf3504f3, v53
	v_mov_b32_e32 v91, v57
	v_mov_b32_e32 v92, v56
	v_fma_f32 v0, v0, 2.0, -v40
	v_fma_f32 v1, v1, 2.0, -v41
	v_fma_f32 v36, v36, 2.0, -v44
	v_fma_f32 v37, v37, 2.0, -v45
	v_sub_f32_e32 v81, v32, v34
	v_sub_f32_e32 v82, v33, v35
	v_fma_f32 v34, v46, 2.0, -v83
	v_fma_f32 v35, v47, 2.0, -v84
	v_fmac_f32_e32 v54, 0xbf3504f3, v53
	v_fmac_f32_e32 v55, 0x3f3504f3, v52
	v_sub_f32_e32 v89, v40, v45
	v_add_f32_e32 v90, v41, v44
	v_fmac_f32_e32 v91, 0x3f3504f3, v80
	v_fmac_f32_e32 v92, 0x3f3504f3, v79
	v_sub_f32_e32 v85, v38, v43
	v_add_f32_e32 v86, v39, v42
	v_sub_f32_e32 v36, v0, v36
	v_sub_f32_e32 v37, v1, v37
	v_fma_f32 v42, v48, 2.0, -v54
	v_fma_f32 v43, v49, 2.0, -v55
	;; [unrolled: 1-line block ×4, first 2 shown]
	v_fmac_f32_e32 v91, 0xbf3504f3, v79
	v_fmac_f32_e32 v92, 0x3f3504f3, v80
	v_mov_b32_e32 v40, v34
	v_mov_b32_e32 v41, v35
	v_fma_f32 v32, v32, 2.0, -v81
	v_fma_f32 v33, v33, 2.0, -v82
	;; [unrolled: 1-line block ×8, first 2 shown]
	v_fmac_f32_e32 v40, 0xbf6c835e, v42
	v_fmac_f32_e32 v41, 0xbf6c835e, v43
	v_mov_b32_e32 v48, v50
	v_mov_b32_e32 v49, v51
	v_sub_f32_e32 v38, v32, v0
	v_sub_f32_e32 v39, v33, v1
	v_fmac_f32_e32 v40, 0xbec3ef15, v43
	v_fmac_f32_e32 v41, 0x3ec3ef15, v42
	v_mov_b32_e32 v42, v46
	v_mov_b32_e32 v43, v47
	v_fmac_f32_e32 v48, 0xbec3ef15, v52
	v_fmac_f32_e32 v49, 0xbec3ef15, v53
	v_mov_b32_e32 v56, v83
	v_mov_b32_e32 v57, v84
	;; [unrolled: 1-line block ×6, first 2 shown]
	v_fmac_f32_e32 v42, 0xbf3504f3, v44
	v_fmac_f32_e32 v43, 0xbf3504f3, v45
	;; [unrolled: 1-line block ×12, first 2 shown]
	v_fma_f32 v44, v50, 2.0, -v48
	v_fma_f32 v45, v51, 2.0, -v49
	v_sub_f32_e32 v50, v81, v37
	v_add_f32_e32 v51, v82, v36
	v_fmac_f32_e32 v56, 0xbf6c835e, v55
	v_fmac_f32_e32 v57, 0x3f6c835e, v54
	v_fmac_f32_e32 v58, 0xbf3504f3, v90
	v_fmac_f32_e32 v59, 0x3f3504f3, v89
	v_fmac_f32_e32 v0, 0xbec3ef15, v92
	v_fmac_f32_e32 v1, 0x3ec3ef15, v91
	v_fma_f32 v79, v32, 2.0, -v38
	v_fma_f32 v80, v33, 2.0, -v39
	;; [unrolled: 1-line block ×14, first 2 shown]
	v_add_u32_e32 v82, 0x400, v99
	v_add_u32_e32 v81, 0x800, v99
	ds_write_b64 v109, v[79:80]
	ds_write2_b64 v99, v[32:33], v[34:35] offset0:34 offset1:68
	ds_write2_b64 v99, v[44:45], v[46:47] offset0:102 offset1:136
	;; [unrolled: 1-line block ×7, first 2 shown]
	ds_write_b64 v99, v[0:1] offset:4080
	s_waitcnt lgkmcnt(0)
	s_barrier
	s_and_saveexec_b64 s[0:1], vcc
	s_cbranch_execz .LBB0_9
; %bb.8:
	s_add_u32 s2, s12, 0x1100
	s_addc_u32 s3, s13, 0
	global_load_dwordx2 v[83:84], v94, s[2:3]
	global_load_dwordx2 v[91:92], v94, s[2:3] offset:256
	global_load_dwordx2 v[130:131], v94, s[2:3] offset:512
	;; [unrolled: 1-line block ×15, first 2 shown]
	v_or_b32_e32 v87, 0x1000, v94
	global_load_dwordx2 v[158:159], v87, s[2:3]
	ds_read_b64 v[85:86], v97
	v_add_u32_e32 v162, 0xc00, v99
	s_waitcnt vmcnt(16) lgkmcnt(0)
	v_mul_f32_e32 v87, v86, v84
	v_mul_f32_e32 v88, v85, v84
	v_fma_f32 v87, v85, v83, -v87
	v_fmac_f32_e32 v88, v86, v83
	ds_write_b64 v97, v[87:88]
	ds_read2_b64 v[83:86], v99 offset0:32 offset1:64
	ds_read2_b64 v[87:90], v99 offset0:96 offset1:128
	;; [unrolled: 1-line block ×7, first 2 shown]
	s_waitcnt vmcnt(15) lgkmcnt(6)
	v_mul_f32_e32 v160, v84, v92
	v_mul_f32_e32 v161, v83, v92
	s_waitcnt vmcnt(14)
	v_mul_f32_e32 v163, v86, v131
	v_mul_f32_e32 v92, v85, v131
	s_waitcnt vmcnt(13) lgkmcnt(5)
	v_mul_f32_e32 v164, v88, v133
	v_mul_f32_e32 v131, v87, v133
	s_waitcnt vmcnt(12)
	v_mul_f32_e32 v165, v90, v135
	v_mul_f32_e32 v133, v89, v135
	;; [unrolled: 6-line block ×6, first 2 shown]
	v_fma_f32 v160, v83, v91, -v160
	v_fmac_f32_e32 v161, v84, v91
	v_fma_f32 v91, v85, v130, -v163
	v_fmac_f32_e32 v92, v86, v130
	;; [unrolled: 2-line block ×12, first 2 shown]
	ds_write2_b64 v99, v[160:161], v[91:92] offset0:32 offset1:64
	ds_write2_b64 v99, v[130:131], v[132:133] offset0:96 offset1:128
	;; [unrolled: 1-line block ×6, first 2 shown]
	ds_read2_b64 v[82:85], v162 offset0:96 offset1:128
	s_waitcnt vmcnt(3) lgkmcnt(7)
	v_mul_f32_e32 v174, v127, v153
	v_mul_f32_e32 v151, v126, v153
	s_waitcnt vmcnt(2)
	v_mul_f32_e32 v153, v129, v155
	v_mul_f32_e32 v87, v128, v155
	v_fma_f32 v150, v126, v152, -v174
	v_fmac_f32_e32 v151, v127, v152
	v_fma_f32 v86, v128, v154, -v153
	v_fmac_f32_e32 v87, v129, v154
	ds_write2_b64 v81, v[150:151], v[86:87] offset0:160 offset1:192
	s_waitcnt vmcnt(1) lgkmcnt(1)
	v_mul_f32_e32 v81, v83, v157
	v_fma_f32 v81, v82, v156, -v81
	v_mul_f32_e32 v82, v82, v157
	v_fmac_f32_e32 v82, v83, v156
	s_waitcnt vmcnt(0)
	v_mul_f32_e32 v83, v85, v159
	v_fma_f32 v83, v84, v158, -v83
	v_mul_f32_e32 v84, v84, v159
	v_fmac_f32_e32 v84, v85, v158
	ds_write2_b64 v162, v[81:82], v[83:84] offset0:96 offset1:128
.LBB0_9:
	s_or_b64 exec, exec, s[0:1]
	s_waitcnt lgkmcnt(0)
	s_barrier
	s_and_saveexec_b64 s[0:1], vcc
	s_cbranch_execz .LBB0_11
; %bb.10:
	v_add_u32_e32 v0, 0x400, v109
	ds_read_b64 v[79:80], v97
	ds_read2_b64 v[32:35], v109 offset0:32 offset1:64
	ds_read2_b64 v[44:47], v109 offset0:96 offset1:128
	;; [unrolled: 1-line block ×4, first 2 shown]
	v_add_u32_e32 v0, 0x800, v109
	ds_read2_b64 v[40:43], v0 offset0:32 offset1:64
	ds_read2_b64 v[48:51], v0 offset0:96 offset1:128
	;; [unrolled: 1-line block ×3, first 2 shown]
	v_add_u32_e32 v0, 0xc00, v109
	ds_read2_b64 v[0:3], v0 offset0:96 offset1:128
.LBB0_11:
	s_or_b64 exec, exec, s[0:1]
	s_waitcnt lgkmcnt(0)
	s_barrier
	s_and_saveexec_b64 s[0:1], vcc
	s_cbranch_execz .LBB0_13
; %bb.12:
	v_sub_f32_e32 v110, v32, v2
	v_mul_f32_e32 v142, 0xbf65296c, v110
	v_sub_f32_e32 v111, v34, v0
	v_add_f32_e32 v126, v3, v33
	v_mov_b32_e32 v81, v142
	v_mul_f32_e32 v143, 0xbf4c4adb, v111
	v_fmac_f32_e32 v81, 0x3ee437d1, v126
	v_add_f32_e32 v127, v1, v35
	v_mov_b32_e32 v82, v143
	v_sub_f32_e32 v112, v44, v58
	v_add_f32_e32 v81, v80, v81
	v_fmac_f32_e32 v82, 0xbf1a4643, v127
	v_mul_f32_e32 v144, 0x3e3c28d5, v112
	v_add_f32_e32 v81, v82, v81
	v_add_f32_e32 v128, v59, v45
	v_mov_b32_e32 v82, v144
	v_sub_f32_e32 v113, v46, v56
	v_fmac_f32_e32 v82, 0xbf7ba420, v128
	v_mul_f32_e32 v145, 0x3f763a35, v113
	v_add_f32_e32 v81, v82, v81
	v_add_f32_e32 v129, v57, v47
	v_mov_b32_e32 v82, v145
	v_sub_f32_e32 v114, v52, v50
	;; [unrolled: 6-line block ×6, first 2 shown]
	s_mov_b32 s2, 0x3ee437d1
	v_fmac_f32_e32 v82, 0xbf59a7d5, v133
	v_add_f32_e32 v118, v2, v32
	v_mul_f32_e32 v150, 0xbf65296c, v134
	v_sub_f32_e32 v135, v35, v1
	s_mov_b32 s3, 0xbf1a4643
	v_add_f32_e32 v82, v82, v81
	v_fma_f32 v81, v118, s2, -v150
	v_add_f32_e32 v119, v0, v34
	v_mul_f32_e32 v151, 0xbf4c4adb, v135
	v_sub_f32_e32 v136, v45, v59
	s_mov_b32 s8, 0xbf7ba420
	v_add_f32_e32 v81, v79, v81
	v_fma_f32 v83, v119, s3, -v151
	;; [unrolled: 6-line block ×7, first 2 shown]
	v_add_f32_e32 v125, v40, v38
	v_mul_f32_e32 v157, 0xbf06c442, v141
	v_add_f32_e32 v81, v83, v81
	v_fma_f32 v83, v125, s17, -v157
	v_mul_f32_e32 v166, 0xbf7ee86f, v110
	v_add_f32_e32 v81, v83, v81
	v_mov_b32_e32 v83, v166
	v_mul_f32_e32 v167, 0xbe3c28d5, v111
	v_fmac_f32_e32 v83, 0x3dbcf732, v126
	v_mov_b32_e32 v84, v167
	v_add_f32_e32 v83, v80, v83
	v_fmac_f32_e32 v84, 0xbf7ba420, v127
	v_mul_f32_e32 v168, 0x3f763a35, v112
	v_add_f32_e32 v83, v84, v83
	v_mov_b32_e32 v84, v168
	v_fmac_f32_e32 v84, 0xbe8c1d8e, v128
	v_mul_f32_e32 v169, 0x3eb8f4ab, v113
	v_add_f32_e32 v83, v84, v83
	v_mov_b32_e32 v84, v169
	;; [unrolled: 4-line block ×6, first 2 shown]
	v_fmac_f32_e32 v84, 0x3f3d2fb0, v133
	v_mul_f32_e32 v174, 0xbf7ee86f, v134
	v_add_f32_e32 v84, v84, v83
	v_fma_f32 v83, v118, s16, -v174
	v_mul_f32_e32 v175, 0xbe3c28d5, v135
	v_add_f32_e32 v83, v79, v83
	v_fma_f32 v85, v119, s8, -v175
	;; [unrolled: 3-line block ×8, first 2 shown]
	v_mul_f32_e32 v164, 0xbf763a35, v110
	v_add_f32_e32 v83, v85, v83
	v_mov_b32_e32 v85, v164
	v_mul_f32_e32 v165, 0x3f06c442, v111
	v_fmac_f32_e32 v85, 0xbe8c1d8e, v126
	v_mov_b32_e32 v86, v165
	v_add_f32_e32 v85, v80, v85
	v_fmac_f32_e32 v86, 0xbf59a7d5, v127
	v_mul_f32_e32 v182, 0x3f2c7751, v112
	v_add_f32_e32 v85, v86, v85
	v_mov_b32_e32 v86, v182
	v_fmac_f32_e32 v86, 0x3f3d2fb0, v128
	v_mul_f32_e32 v183, 0xbf65296c, v113
	v_add_f32_e32 v85, v86, v85
	v_mov_b32_e32 v86, v183
	;; [unrolled: 4-line block ×6, first 2 shown]
	v_fmac_f32_e32 v86, 0xbf1a4643, v133
	v_mul_f32_e32 v188, 0xbf763a35, v134
	v_add_f32_e32 v86, v86, v85
	v_fma_f32 v85, v118, s9, -v188
	v_mul_f32_e32 v189, 0x3f06c442, v135
	v_add_f32_e32 v85, v79, v85
	v_fma_f32 v87, v119, s17, -v189
	;; [unrolled: 3-line block ×8, first 2 shown]
	v_mul_f32_e32 v162, 0xbf4c4adb, v110
	v_add_f32_e32 v85, v87, v85
	v_mov_b32_e32 v87, v162
	v_mul_f32_e32 v163, 0x3f763a35, v111
	v_fmac_f32_e32 v87, 0xbf1a4643, v126
	v_mov_b32_e32 v88, v163
	v_add_f32_e32 v87, v80, v87
	v_fmac_f32_e32 v88, 0xbe8c1d8e, v127
	v_mul_f32_e32 v196, 0xbeb8f4ab, v112
	v_add_f32_e32 v87, v88, v87
	v_mov_b32_e32 v88, v196
	v_fmac_f32_e32 v88, 0x3f6eb680, v128
	v_mul_f32_e32 v197, 0xbf06c442, v113
	v_add_f32_e32 v87, v88, v87
	v_mov_b32_e32 v88, v197
	v_fmac_f32_e32 v88, 0xbf59a7d5, v129
	v_mul_f32_e32 v198, 0x3f7ee86f, v114
	v_fma_f32 v142, v126, s2, -v142
	v_add_f32_e32 v87, v88, v87
	v_mov_b32_e32 v88, v198
	v_add_f32_e32 v142, v80, v142
	v_fma_f32 v143, v127, s3, -v143
	v_fmac_f32_e32 v88, 0x3dbcf732, v130
	v_mul_f32_e32 v199, 0xbf2c7751, v115
	v_add_f32_e32 v142, v143, v142
	v_fma_f32 v143, v128, s8, -v144
	v_add_f32_e32 v87, v88, v87
	v_mov_b32_e32 v88, v199
	v_add_f32_e32 v142, v143, v142
	v_fma_f32 v143, v129, s9, -v145
	v_fmac_f32_e32 v88, 0x3f3d2fb0, v131
	v_mul_f32_e32 v200, 0xbe3c28d5, v116
	v_add_f32_e32 v142, v143, v142
	v_fma_f32 v143, v130, s10, -v146
	v_mul_f32_e32 v146, 0x3f3d2fb0, v126
	v_add_f32_e32 v87, v88, v87
	v_mov_b32_e32 v88, v200
	v_add_f32_e32 v142, v143, v142
	v_fma_f32 v143, v131, s11, -v147
	v_mov_b32_e32 v144, v146
	v_mul_f32_e32 v147, 0x3dbcf732, v127
	v_fmac_f32_e32 v88, 0xbf7ba420, v132
	v_mul_f32_e32 v201, 0x3f65296c, v117
	v_fmac_f32_e32 v144, 0x3f2c7751, v110
	v_mov_b32_e32 v145, v147
	v_add_f32_e32 v87, v88, v87
	v_mov_b32_e32 v88, v201
	v_add_f32_e32 v142, v143, v142
	v_fma_f32 v143, v132, s16, -v148
	v_add_f32_e32 v144, v80, v144
	v_fmac_f32_e32 v145, 0x3f7ee86f, v111
	v_mul_f32_e32 v148, 0xbf1a4643, v128
	v_fmac_f32_e32 v88, 0x3ee437d1, v133
	v_mul_f32_e32 v202, 0xbf4c4adb, v134
	v_add_f32_e32 v144, v145, v144
	v_mov_b32_e32 v145, v148
	v_add_f32_e32 v88, v88, v87
	v_fma_f32 v87, v118, s3, -v202
	v_mul_f32_e32 v203, 0x3f763a35, v135
	v_add_f32_e32 v142, v143, v142
	v_fma_f32 v143, v133, s17, -v149
	v_fmac_f32_e32 v145, 0x3f4c4adb, v112
	v_mul_f32_e32 v149, 0xbf7ba420, v129
	v_add_f32_e32 v87, v79, v87
	v_fma_f32 v89, v119, s9, -v203
	v_mul_f32_e32 v204, 0xbeb8f4ab, v136
	v_fmac_f32_e32 v150, 0x3ee437d1, v118
	v_add_f32_e32 v144, v145, v144
	v_mov_b32_e32 v145, v149
	v_add_f32_e32 v87, v89, v87
	v_fma_f32 v89, v120, s11, -v204
	v_mul_f32_e32 v205, 0xbf06c442, v137
	v_add_f32_e32 v143, v143, v142
	v_add_f32_e32 v142, v79, v150
	v_fmac_f32_e32 v145, 0x3e3c28d5, v113
	v_mul_f32_e32 v150, 0xbf59a7d5, v130
	v_add_f32_e32 v33, v33, v80
	v_add_f32_e32 v87, v89, v87
	v_fma_f32 v89, v121, s17, -v205
	v_mul_f32_e32 v206, 0x3f7ee86f, v138
	v_fmac_f32_e32 v151, 0xbf1a4643, v119
	v_add_f32_e32 v144, v145, v144
	v_mov_b32_e32 v145, v150
	v_add_f32_e32 v33, v35, v33
	v_add_f32_e32 v87, v89, v87
	v_fma_f32 v89, v122, s16, -v206
	v_mul_f32_e32 v207, 0xbf2c7751, v139
	v_add_f32_e32 v142, v151, v142
	v_fmac_f32_e32 v145, 0xbf06c442, v114
	v_mul_f32_e32 v151, 0xbe8c1d8e, v131
	v_add_f32_e32 v33, v45, v33
	v_add_f32_e32 v87, v89, v87
	v_fma_f32 v89, v123, s10, -v207
	v_mul_f32_e32 v208, 0xbe3c28d5, v140
	v_fmac_f32_e32 v152, 0xbf7ba420, v120
	v_add_f32_e32 v144, v145, v144
	v_mov_b32_e32 v145, v151
	v_add_f32_e32 v33, v47, v33
	v_add_f32_e32 v87, v89, v87
	v_fma_f32 v89, v124, s8, -v208
	v_mul_f32_e32 v209, 0x3f65296c, v141
	v_add_f32_e32 v142, v152, v142
	v_fmac_f32_e32 v145, 0xbf763a35, v115
	v_mul_f32_e32 v152, 0x3ee437d1, v132
	v_add_f32_e32 v33, v53, v33
	v_add_f32_e32 v87, v89, v87
	v_fma_f32 v89, v125, s2, -v209
	v_mul_f32_e32 v160, 0xbf06c442, v110
	v_fmac_f32_e32 v153, 0xbe8c1d8e, v121
	v_add_f32_e32 v144, v145, v144
	v_mov_b32_e32 v145, v152
	v_add_f32_e32 v33, v55, v33
	v_add_f32_e32 v87, v89, v87
	v_mov_b32_e32 v89, v160
	v_mul_f32_e32 v161, 0x3f65296c, v111
	v_add_f32_e32 v142, v153, v142
	v_fmac_f32_e32 v145, 0xbf65296c, v116
	v_mul_f32_e32 v153, 0x3f6eb680, v133
	v_add_f32_e32 v33, v37, v33
	v_fmac_f32_e32 v89, 0xbf59a7d5, v126
	v_mov_b32_e32 v90, v161
	v_fmac_f32_e32 v154, 0x3f3d2fb0, v122
	v_add_f32_e32 v144, v145, v144
	v_mov_b32_e32 v145, v153
	v_add_f32_e32 v33, v39, v33
	v_add_f32_e32 v89, v80, v89
	v_fmac_f32_e32 v90, 0x3ee437d1, v127
	v_mul_f32_e32 v210, 0xbf7ee86f, v112
	v_add_f32_e32 v142, v154, v142
	v_fmac_f32_e32 v155, 0x3f6eb680, v123
	v_fmac_f32_e32 v145, 0xbeb8f4ab, v117
	v_mul_f32_e32 v154, 0xbf2c7751, v134
	v_add_f32_e32 v33, v41, v33
	v_add_f32_e32 v89, v90, v89
	v_mov_b32_e32 v90, v210
	v_add_f32_e32 v142, v155, v142
	v_fmac_f32_e32 v156, 0x3dbcf732, v124
	v_add_f32_e32 v145, v145, v144
	v_mov_b32_e32 v144, v154
	v_mul_f32_e32 v155, 0xbf7ee86f, v135
	v_add_f32_e32 v33, v43, v33
	v_fmac_f32_e32 v90, 0x3dbcf732, v128
	v_mul_f32_e32 v211, 0x3f4c4adb, v113
	v_add_f32_e32 v142, v156, v142
	v_fmac_f32_e32 v144, 0x3f3d2fb0, v118
	v_mov_b32_e32 v156, v155
	v_add_f32_e32 v33, v49, v33
	v_add_f32_e32 v89, v90, v89
	v_mov_b32_e32 v90, v211
	v_add_f32_e32 v144, v79, v144
	v_fmac_f32_e32 v156, 0x3dbcf732, v119
	v_add_f32_e32 v33, v51, v33
	v_fmac_f32_e32 v90, 0xbf1a4643, v129
	v_mul_f32_e32 v212, 0xbeb8f4ab, v114
	v_fmac_f32_e32 v157, 0xbf59a7d5, v125
	v_add_f32_e32 v144, v156, v144
	v_mul_f32_e32 v156, 0xbf4c4adb, v136
	v_add_f32_e32 v33, v57, v33
	v_add_f32_e32 v89, v90, v89
	v_mov_b32_e32 v90, v212
	v_add_f32_e32 v142, v157, v142
	v_mov_b32_e32 v157, v156
	v_add_f32_e32 v33, v59, v33
	v_fmac_f32_e32 v90, 0x3f6eb680, v130
	v_mul_f32_e32 v213, 0xbe3c28d5, v115
	v_fma_f32 v166, v126, s16, -v166
	v_fmac_f32_e32 v157, 0xbf1a4643, v120
	v_add_f32_e32 v1, v1, v33
	v_add_f32_e32 v89, v90, v89
	v_mov_b32_e32 v90, v213
	v_add_f32_e32 v166, v80, v166
	v_fma_f32 v167, v127, s8, -v167
	v_add_f32_e32 v144, v157, v144
	v_mul_f32_e32 v157, 0xbe3c28d5, v137
	v_add_f32_e32 v1, v3, v1
	v_add_f32_e32 v3, v32, v79
	v_fmac_f32_e32 v90, 0xbf7ba420, v131
	v_mul_f32_e32 v214, 0x3f2c7751, v116
	v_add_f32_e32 v166, v167, v166
	v_fma_f32 v167, v128, s9, -v168
	v_mov_b32_e32 v168, v157
	v_add_f32_e32 v3, v34, v3
	v_add_f32_e32 v89, v90, v89
	v_mov_b32_e32 v90, v214
	v_fmac_f32_e32 v168, 0xbf7ba420, v121
	v_add_f32_e32 v3, v44, v3
	v_fmac_f32_e32 v90, 0x3f3d2fb0, v132
	v_mul_f32_e32 v215, 0xbf763a35, v117
	v_add_f32_e32 v144, v168, v144
	v_mul_f32_e32 v168, 0x3f06c442, v138
	v_add_f32_e32 v3, v46, v3
	v_add_f32_e32 v89, v90, v89
	v_mov_b32_e32 v90, v215
	v_add_f32_e32 v166, v167, v166
	v_fma_f32 v167, v129, s11, -v169
	v_mov_b32_e32 v169, v168
	v_add_f32_e32 v3, v52, v3
	v_fmac_f32_e32 v90, 0xbe8c1d8e, v133
	v_mul_f32_e32 v216, 0xbf06c442, v134
	v_fmac_f32_e32 v169, 0xbf59a7d5, v122
	v_add_f32_e32 v3, v54, v3
	v_add_f32_e32 v90, v90, v89
	v_fma_f32 v89, v118, s17, -v216
	v_mul_f32_e32 v217, 0x3f65296c, v135
	v_add_f32_e32 v144, v169, v144
	v_mul_f32_e32 v169, 0x3f763a35, v139
	v_add_f32_e32 v3, v36, v3
	v_add_f32_e32 v89, v79, v89
	v_fma_f32 v91, v119, s2, -v217
	v_mul_f32_e32 v218, 0xbf7ee86f, v136
	v_add_f32_e32 v166, v167, v166
	v_fma_f32 v167, v130, s2, -v170
	v_mov_b32_e32 v170, v169
	v_add_f32_e32 v3, v38, v3
	v_add_f32_e32 v89, v91, v89
	v_fma_f32 v91, v120, s16, -v218
	v_mul_f32_e32 v219, 0x3f4c4adb, v137
	v_fmac_f32_e32 v170, 0xbe8c1d8e, v123
	v_add_f32_e32 v3, v40, v3
	v_add_f32_e32 v89, v91, v89
	v_fma_f32 v91, v121, s3, -v219
	v_mul_f32_e32 v220, 0xbeb8f4ab, v138
	v_add_f32_e32 v144, v170, v144
	v_mul_f32_e32 v170, 0x3f65296c, v140
	v_add_f32_e32 v3, v42, v3
	v_add_f32_e32 v89, v91, v89
	v_fma_f32 v91, v122, s11, -v220
	v_mul_f32_e32 v221, 0xbe3c28d5, v139
	v_add_f32_e32 v166, v167, v166
	v_fma_f32 v167, v131, s17, -v171
	v_mov_b32_e32 v171, v170
	v_add_f32_e32 v3, v48, v3
	v_add_f32_e32 v89, v91, v89
	v_fma_f32 v91, v123, s8, -v221
	v_mul_f32_e32 v222, 0x3f2c7751, v140
	v_fmac_f32_e32 v171, 0x3ee437d1, v124
	v_add_f32_e32 v3, v50, v3
	v_add_f32_e32 v89, v91, v89
	v_fma_f32 v91, v124, s10, -v222
	v_mul_f32_e32 v223, 0xbf763a35, v141
	v_add_f32_e32 v144, v171, v144
	v_mul_f32_e32 v171, 0x3eb8f4ab, v141
	v_add_f32_e32 v3, v56, v3
	v_add_f32_e32 v89, v91, v89
	v_fma_f32 v91, v125, s9, -v223
	v_mul_f32_e32 v158, 0xbe3c28d5, v110
	v_add_f32_e32 v166, v167, v166
	v_fma_f32 v167, v132, s3, -v172
	v_mov_b32_e32 v172, v171
	v_add_f32_e32 v3, v58, v3
	v_add_f32_e32 v89, v91, v89
	v_mov_b32_e32 v91, v158
	v_mul_f32_e32 v159, 0x3eb8f4ab, v111
	v_fmac_f32_e32 v172, 0x3f6eb680, v125
	v_add_f32_e32 v0, v0, v3
	v_fmac_f32_e32 v146, 0xbf2c7751, v110
	v_fmac_f32_e32 v91, 0xbf7ba420, v126
	v_mov_b32_e32 v92, v159
	v_add_f32_e32 v144, v172, v144
	v_mul_f32_e32 v172, 0x3f6eb680, v126
	v_add_f32_e32 v0, v2, v0
	v_add_f32_e32 v2, v80, v146
	v_fmac_f32_e32 v147, 0xbf7ee86f, v111
	v_add_f32_e32 v91, v80, v91
	v_fmac_f32_e32 v92, 0x3f6eb680, v127
	v_mul_f32_e32 v224, 0xbf06c442, v112
	v_fma_f32 v158, v126, s8, -v158
	v_fma_f32 v160, v126, s17, -v160
	;; [unrolled: 1-line block ×4, first 2 shown]
	v_add_f32_e32 v166, v167, v166
	v_fma_f32 v167, v133, s10, -v173
	v_mov_b32_e32 v126, v172
	v_mul_f32_e32 v173, 0x3f3d2fb0, v127
	v_add_f32_e32 v2, v147, v2
	v_fmac_f32_e32 v148, 0xbf4c4adb, v112
	v_add_f32_e32 v91, v92, v91
	v_mov_b32_e32 v92, v224
	v_add_f32_e32 v158, v80, v158
	v_fma_f32 v159, v127, s11, -v159
	v_add_f32_e32 v160, v80, v160
	v_fma_f32 v161, v127, s2, -v161
	;; [unrolled: 2-line block ×4, first 2 shown]
	v_fmac_f32_e32 v126, 0x3eb8f4ab, v110
	v_mov_b32_e32 v127, v173
	v_add_f32_e32 v2, v148, v2
	v_fmac_f32_e32 v149, 0xbe3c28d5, v113
	v_fmac_f32_e32 v92, 0xbf59a7d5, v128
	v_mul_f32_e32 v225, 0x3f2c7751, v113
	v_add_f32_e32 v158, v159, v158
	v_fma_f32 v159, v128, s17, -v224
	v_add_f32_e32 v160, v161, v160
	v_fma_f32 v161, v128, s16, -v210
	;; [unrolled: 2-line block ×4, first 2 shown]
	v_add_f32_e32 v126, v80, v126
	v_fmac_f32_e32 v127, 0x3f2c7751, v111
	v_mul_f32_e32 v128, 0x3ee437d1, v128
	v_add_f32_e32 v2, v149, v2
	v_fmac_f32_e32 v150, 0x3f06c442, v114
	v_add_f32_e32 v91, v92, v91
	v_mov_b32_e32 v92, v225
	v_add_f32_e32 v126, v127, v126
	v_mov_b32_e32 v127, v128
	v_add_f32_e32 v2, v150, v2
	v_fmac_f32_e32 v151, 0x3f763a35, v115
	v_fmac_f32_e32 v92, 0x3f3d2fb0, v129
	v_mul_f32_e32 v226, 0xbf4c4adb, v114
	v_add_f32_e32 v158, v159, v158
	v_fma_f32 v159, v129, s10, -v225
	v_add_f32_e32 v160, v161, v160
	v_fma_f32 v161, v129, s3, -v211
	;; [unrolled: 2-line block ×4, first 2 shown]
	v_fmac_f32_e32 v127, 0x3f65296c, v112
	v_mul_f32_e32 v129, 0x3dbcf732, v129
	v_add_f32_e32 v2, v151, v2
	v_fmac_f32_e32 v152, 0x3f65296c, v116
	v_add_f32_e32 v91, v92, v91
	v_mov_b32_e32 v92, v226
	v_add_f32_e32 v126, v127, v126
	v_mov_b32_e32 v127, v129
	v_add_f32_e32 v2, v152, v2
	v_fmac_f32_e32 v153, 0x3eb8f4ab, v117
	v_fmac_f32_e32 v92, 0xbf1a4643, v130
	v_mul_f32_e32 v227, 0x3f65296c, v115
	v_add_f32_e32 v158, v159, v158
	v_fma_f32 v159, v130, s3, -v226
	v_add_f32_e32 v160, v161, v160
	v_fma_f32 v161, v130, s11, -v212
	v_add_f32_e32 v162, v163, v162
	v_fma_f32 v163, v130, s16, -v198
	v_add_f32_e32 v164, v165, v164
	v_fma_f32 v165, v130, s8, -v184
	v_fmac_f32_e32 v127, 0x3f7ee86f, v113
	v_mul_f32_e32 v130, 0xbe8c1d8e, v130
	v_add_f32_e32 v3, v153, v2
	v_fma_f32 v2, v118, s10, -v154
	v_add_f32_e32 v91, v92, v91
	v_mov_b32_e32 v92, v227
	v_add_f32_e32 v126, v127, v126
	v_mov_b32_e32 v127, v130
	v_add_f32_e32 v2, v79, v2
	v_fma_f32 v32, v119, s16, -v155
	v_fmac_f32_e32 v92, 0x3ee437d1, v131
	v_mul_f32_e32 v228, 0xbf763a35, v116
	v_add_f32_e32 v158, v159, v158
	v_fma_f32 v159, v131, s2, -v227
	v_add_f32_e32 v160, v161, v160
	v_fma_f32 v161, v131, s8, -v213
	v_add_f32_e32 v162, v163, v162
	v_fma_f32 v163, v131, s10, -v199
	v_add_f32_e32 v164, v165, v164
	v_fma_f32 v165, v131, s16, -v185
	v_fmac_f32_e32 v127, 0x3f763a35, v114
	v_mul_f32_e32 v131, 0xbf1a4643, v131
	v_add_f32_e32 v2, v32, v2
	v_fma_f32 v32, v120, s3, -v156
	v_add_f32_e32 v91, v92, v91
	v_mov_b32_e32 v92, v228
	v_add_f32_e32 v126, v127, v126
	v_mov_b32_e32 v127, v131
	v_add_f32_e32 v2, v32, v2
	v_fma_f32 v32, v121, s8, -v157
	;; [unrolled: 20-line block ×3, first 2 shown]
	v_fmac_f32_e32 v92, 0x3dbcf732, v133
	v_add_f32_e32 v158, v159, v158
	v_fma_f32 v159, v133, s16, -v229
	v_add_f32_e32 v160, v161, v160
	v_fma_f32 v161, v133, s9, -v215
	;; [unrolled: 2-line block ×4, first 2 shown]
	v_fmac_f32_e32 v127, 0x3f06c442, v116
	v_mul_f32_e32 v133, 0xbf7ba420, v133
	v_add_f32_e32 v2, v32, v2
	v_fma_f32 v32, v124, s2, -v170
	v_add_f32_e32 v126, v127, v126
	v_mov_b32_e32 v127, v133
	v_add_f32_e32 v2, v32, v2
	v_fma_f32 v32, v125, s11, -v171
	v_fmac_f32_e32 v172, 0xbeb8f4ab, v110
	v_mul_f32_e32 v230, 0xbe3c28d5, v134
	v_fmac_f32_e32 v127, 0x3e3c28d5, v117
	v_mul_f32_e32 v134, 0xbeb8f4ab, v134
	v_add_f32_e32 v2, v32, v2
	v_add_f32_e32 v32, v80, v172
	v_fmac_f32_e32 v173, 0xbf2c7751, v111
	v_add_f32_e32 v92, v92, v91
	v_fma_f32 v91, v118, s8, -v230
	v_mul_f32_e32 v231, 0x3eb8f4ab, v135
	v_fmac_f32_e32 v174, 0x3dbcf732, v118
	v_add_f32_e32 v127, v127, v126
	v_mov_b32_e32 v126, v134
	v_mul_f32_e32 v135, 0xbf2c7751, v135
	v_add_f32_e32 v32, v173, v32
	v_fmac_f32_e32 v128, 0xbf65296c, v112
	v_add_f32_e32 v91, v79, v91
	v_fma_f32 v232, v119, s11, -v231
	v_add_f32_e32 v167, v167, v166
	v_add_f32_e32 v166, v79, v174
	v_fmac_f32_e32 v126, 0x3f6eb680, v118
	v_mov_b32_e32 v174, v135
	v_add_f32_e32 v32, v128, v32
	v_fmac_f32_e32 v129, 0xbf7ee86f, v113
	v_add_f32_e32 v91, v232, v91
	v_mul_f32_e32 v232, 0xbf06c442, v136
	v_add_f32_e32 v126, v79, v126
	v_fmac_f32_e32 v174, 0x3f3d2fb0, v119
	v_mul_f32_e32 v136, 0xbf65296c, v136
	v_add_f32_e32 v32, v129, v32
	v_fmac_f32_e32 v130, 0xbf763a35, v114
	v_fma_f32 v233, v120, s17, -v232
	v_add_f32_e32 v126, v174, v126
	v_mov_b32_e32 v174, v136
	v_add_f32_e32 v32, v130, v32
	v_fmac_f32_e32 v131, 0xbf4c4adb, v115
	v_add_f32_e32 v91, v233, v91
	v_mul_f32_e32 v233, 0x3f2c7751, v137
	v_fmac_f32_e32 v174, 0x3ee437d1, v120
	v_mul_f32_e32 v137, 0xbf7ee86f, v137
	v_add_f32_e32 v32, v131, v32
	v_fmac_f32_e32 v132, 0xbf06c442, v116
	v_fma_f32 v234, v121, s10, -v233
	v_add_f32_e32 v126, v174, v126
	v_mov_b32_e32 v174, v137
	v_add_f32_e32 v32, v132, v32
	v_fmac_f32_e32 v133, 0xbe3c28d5, v117
	v_add_f32_e32 v91, v234, v91
	v_mul_f32_e32 v234, 0xbf4c4adb, v138
	v_fmac_f32_e32 v174, 0x3dbcf732, v121
	v_mul_f32_e32 v138, 0xbf763a35, v138
	v_add_f32_e32 v33, v133, v32
	v_fma_f32 v32, v118, s11, -v134
	v_fma_f32 v235, v122, s3, -v234
	v_add_f32_e32 v126, v174, v126
	v_mov_b32_e32 v174, v138
	v_add_f32_e32 v32, v79, v32
	v_fma_f32 v34, v119, s10, -v135
	v_add_f32_e32 v91, v235, v91
	v_mul_f32_e32 v235, 0x3f65296c, v139
	v_fmac_f32_e32 v230, 0xbf7ba420, v118
	v_fmac_f32_e32 v216, 0xbf59a7d5, v118
	;; [unrolled: 1-line block ×5, first 2 shown]
	v_mul_f32_e32 v139, 0xbf4c4adb, v139
	v_add_f32_e32 v32, v34, v32
	v_fma_f32 v34, v120, s2, -v136
	v_fma_f32 v236, v123, s2, -v235
	v_add_f32_e32 v159, v159, v158
	v_add_f32_e32 v158, v79, v230
	v_fmac_f32_e32 v231, 0x3f6eb680, v119
	v_add_f32_e32 v161, v161, v160
	v_add_f32_e32 v160, v79, v216
	v_fmac_f32_e32 v217, 0x3ee437d1, v119
	;; [unrolled: 3-line block ×4, first 2 shown]
	v_fmac_f32_e32 v175, 0xbf7ba420, v119
	v_add_f32_e32 v126, v174, v126
	v_mov_b32_e32 v174, v139
	v_add_f32_e32 v32, v34, v32
	v_fma_f32 v34, v121, s16, -v137
	v_add_f32_e32 v91, v236, v91
	v_mul_f32_e32 v236, 0xbf763a35, v140
	v_add_f32_e32 v158, v231, v158
	v_fmac_f32_e32 v232, 0xbf59a7d5, v120
	v_add_f32_e32 v160, v217, v160
	v_fmac_f32_e32 v218, 0x3dbcf732, v120
	;; [unrolled: 2-line block ×5, first 2 shown]
	v_fmac_f32_e32 v174, 0xbf1a4643, v123
	v_mul_f32_e32 v140, 0xbf06c442, v140
	v_add_f32_e32 v32, v34, v32
	v_fma_f32 v34, v122, s9, -v138
	v_fma_f32 v237, v124, s9, -v236
	v_add_f32_e32 v158, v232, v158
	v_fmac_f32_e32 v233, 0x3f3d2fb0, v121
	v_add_f32_e32 v160, v218, v160
	v_fmac_f32_e32 v219, 0xbf1a4643, v121
	;; [unrolled: 2-line block ×5, first 2 shown]
	v_add_f32_e32 v126, v174, v126
	v_mov_b32_e32 v174, v140
	v_add_f32_e32 v32, v34, v32
	v_fma_f32 v34, v123, s3, -v139
	v_add_f32_e32 v91, v237, v91
	v_mul_f32_e32 v237, 0x3f7ee86f, v141
	v_add_f32_e32 v158, v233, v158
	v_fmac_f32_e32 v234, 0xbf1a4643, v122
	v_add_f32_e32 v160, v219, v160
	v_fmac_f32_e32 v220, 0x3f6eb680, v122
	;; [unrolled: 2-line block ×5, first 2 shown]
	v_fmac_f32_e32 v174, 0xbf59a7d5, v124
	v_mul_f32_e32 v141, 0xbe3c28d5, v141
	v_add_f32_e32 v32, v34, v32
	v_fma_f32 v34, v124, s17, -v140
	v_add_f32_e32 v158, v234, v158
	v_fmac_f32_e32 v235, 0x3ee437d1, v123
	v_add_f32_e32 v160, v220, v160
	v_fmac_f32_e32 v221, 0xbf7ba420, v123
	;; [unrolled: 2-line block ×5, first 2 shown]
	v_add_f32_e32 v126, v174, v126
	v_mov_b32_e32 v174, v141
	v_add_f32_e32 v32, v34, v32
	v_fma_f32 v34, v125, s8, -v141
	v_add_f32_e32 v158, v235, v158
	v_fmac_f32_e32 v236, 0xbe8c1d8e, v124
	v_add_f32_e32 v160, v221, v160
	v_fmac_f32_e32 v222, 0x3f3d2fb0, v124
	;; [unrolled: 2-line block ×5, first 2 shown]
	v_fmac_f32_e32 v174, 0xbf7ba420, v125
	v_add_f32_e32 v32, v34, v32
	v_mul_lo_u16_e32 v34, 17, v93
	v_fma_f32 v238, v125, s16, -v237
	v_add_f32_e32 v158, v236, v158
	v_fmac_f32_e32 v237, 0x3dbcf732, v125
	v_add_f32_e32 v160, v222, v160
	v_fmac_f32_e32 v223, 0xbe8c1d8e, v125
	;; [unrolled: 2-line block ×5, first 2 shown]
	v_add_f32_e32 v126, v174, v126
	v_lshl_add_u32 v34, v34, 3, v98
	v_add_f32_e32 v91, v238, v91
	v_add_f32_e32 v158, v237, v158
	;; [unrolled: 1-line block ×6, first 2 shown]
	ds_write2_b64 v34, v[0:1], v[126:127] offset1:1
	ds_write2_b64 v34, v[144:145], v[142:143] offset0:2 offset1:3
	ds_write2_b64 v34, v[166:167], v[164:165] offset0:4 offset1:5
	;; [unrolled: 1-line block ×7, first 2 shown]
	ds_write_b64 v34, v[32:33] offset:128
.LBB0_13:
	s_or_b64 exec, exec, s[0:1]
	v_add_u32_e32 v79, 0x800, v100
	s_waitcnt lgkmcnt(0)
	s_barrier
	ds_read2_b64 v[0:3], v100 offset1:34
	ds_read2_b64 v[32:35], v79 offset0:16 offset1:50
	ds_read2_b64 v[36:39], v100 offset0:68 offset1:102
	;; [unrolled: 1-line block ×7, first 2 shown]
	s_waitcnt lgkmcnt(6)
	v_mul_f32_e32 v80, v68, v33
	v_fmac_f32_e32 v80, v67, v32
	v_mul_f32_e32 v32, v68, v32
	v_fma_f32 v33, v67, v33, -v32
	v_mul_f32_e32 v32, v66, v34
	v_mul_f32_e32 v67, v66, v35
	v_fma_f32 v35, v65, v35, -v32
	s_waitcnt lgkmcnt(4)
	v_mul_f32_e32 v32, v64, v40
	v_fmac_f32_e32 v67, v65, v34
	v_mul_f32_e32 v65, v64, v41
	v_fma_f32 v41, v63, v41, -v32
	v_mul_f32_e32 v32, v62, v42
	v_fmac_f32_e32 v65, v63, v40
	v_mul_f32_e32 v63, v62, v43
	v_fma_f32 v43, v61, v43, -v32
	s_waitcnt lgkmcnt(2)
	v_mul_f32_e32 v32, v72, v48
	v_fmac_f32_e32 v63, v61, v42
	v_mul_f32_e32 v61, v72, v49
	v_fma_f32 v49, v71, v49, -v32
	v_mul_f32_e32 v32, v70, v50
	v_mul_f32_e32 v62, v70, v51
	v_fma_f32 v51, v69, v51, -v32
	s_waitcnt lgkmcnt(0)
	v_mul_f32_e32 v32, v76, v56
	v_mul_f32_e32 v64, v76, v57
	v_fma_f32 v57, v75, v57, -v32
	v_mul_f32_e32 v66, v74, v59
	v_mul_f32_e32 v32, v74, v58
	v_fmac_f32_e32 v61, v71, v48
	v_fmac_f32_e32 v62, v69, v50
	;; [unrolled: 1-line block ×4, first 2 shown]
	v_fma_f32 v59, v73, v59, -v32
	v_sub_f32_e32 v32, v0, v80
	v_sub_f32_e32 v33, v1, v33
	;; [unrolled: 1-line block ×16, first 2 shown]
	v_fma_f32 v0, v0, 2.0, -v32
	v_fma_f32 v1, v1, 2.0, -v33
	;; [unrolled: 1-line block ×16, first 2 shown]
	s_barrier
	ds_write2_b64 v101, v[0:1], v[32:33] offset1:17
	ds_write2_b64 v102, v[2:3], v[34:35] offset1:17
	;; [unrolled: 1-line block ×8, first 2 shown]
	s_waitcnt lgkmcnt(0)
	s_barrier
	ds_read2_b64 v[0:3], v100 offset1:34
	ds_read2_b64 v[32:35], v100 offset0:68 offset1:102
	ds_read2_b64 v[36:39], v100 offset0:136 offset1:170
	;; [unrolled: 1-line block ×7, first 2 shown]
	s_waitcnt lgkmcnt(7)
	v_mul_f32_e32 v61, v25, v3
	v_fmac_f32_e32 v61, v24, v2
	v_mul_f32_e32 v2, v25, v2
	s_waitcnt lgkmcnt(6)
	v_mul_f32_e32 v25, v17, v35
	v_mul_f32_e32 v17, v17, v34
	v_fmac_f32_e32 v25, v16, v34
	v_fma_f32 v16, v16, v35, -v17
	s_waitcnt lgkmcnt(5)
	v_mul_f32_e32 v17, v19, v37
	v_mul_f32_e32 v19, v19, v36
	v_fmac_f32_e32 v17, v18, v36
	v_fma_f32 v18, v18, v37, -v19
	v_mul_f32_e32 v19, v9, v39
	v_mul_f32_e32 v9, v9, v38
	v_fmac_f32_e32 v19, v8, v38
	v_fma_f32 v8, v8, v39, -v9
	s_waitcnt lgkmcnt(4)
	v_mul_f32_e32 v9, v11, v41
	v_mul_f32_e32 v11, v11, v40
	v_fmac_f32_e32 v9, v10, v40
	v_fma_f32 v10, v10, v41, -v11
	v_mul_f32_e32 v11, v5, v43
	v_mul_f32_e32 v5, v5, v42
	v_fma_f32 v2, v24, v3, -v2
	v_mul_f32_e32 v3, v27, v33
	v_mul_f32_e32 v24, v27, v32
	v_fmac_f32_e32 v11, v4, v42
	v_fma_f32 v4, v4, v43, -v5
	s_waitcnt lgkmcnt(3)
	v_mul_f32_e32 v5, v7, v45
	v_mul_f32_e32 v7, v7, v44
	v_fmac_f32_e32 v3, v26, v32
	v_fma_f32 v24, v26, v33, -v24
	v_fmac_f32_e32 v5, v6, v44
	v_fma_f32 v6, v6, v45, -v7
	v_mul_f32_e32 v7, v29, v47
	v_mul_f32_e32 v26, v29, v46
	s_waitcnt lgkmcnt(2)
	v_mul_f32_e32 v29, v21, v51
	v_mul_f32_e32 v21, v21, v50
	v_fmac_f32_e32 v29, v20, v50
	v_fma_f32 v20, v20, v51, -v21
	s_waitcnt lgkmcnt(1)
	v_mul_f32_e32 v21, v23, v53
	v_mul_f32_e32 v23, v23, v52
	v_fmac_f32_e32 v21, v22, v52
	v_fma_f32 v22, v22, v53, -v23
	v_mul_f32_e32 v23, v13, v55
	v_mul_f32_e32 v13, v13, v54
	v_fmac_f32_e32 v23, v12, v54
	v_fma_f32 v12, v12, v55, -v13
	s_waitcnt lgkmcnt(0)
	v_mul_f32_e32 v13, v15, v57
	v_mul_f32_e32 v15, v15, v56
	v_fmac_f32_e32 v7, v28, v46
	v_fma_f32 v26, v28, v47, -v26
	v_mul_f32_e32 v27, v31, v49
	v_mul_f32_e32 v28, v31, v48
	v_fmac_f32_e32 v13, v14, v56
	v_fma_f32 v14, v14, v57, -v15
	v_mul_f32_e32 v15, v78, v59
	v_fmac_f32_e32 v27, v30, v48
	v_fma_f32 v28, v30, v49, -v28
	v_fmac_f32_e32 v15, v77, v58
	v_sub_f32_e32 v5, v0, v5
	v_sub_f32_e32 v6, v1, v6
	;; [unrolled: 1-line block ×4, first 2 shown]
	v_mul_f32_e32 v30, v78, v58
	v_fma_f32 v17, v17, 2.0, -v21
	v_fma_f32 v18, v18, 2.0, -v22
	v_sub_f32_e32 v27, v3, v27
	v_sub_f32_e32 v28, v24, v28
	;; [unrolled: 1-line block ×8, first 2 shown]
	v_add_f32_e32 v22, v5, v22
	v_sub_f32_e32 v21, v6, v21
	v_fma_f32 v30, v77, v59, -v30
	v_fma_f32 v0, v0, 2.0, -v5
	v_fma_f32 v1, v1, 2.0, -v6
	;; [unrolled: 1-line block ×6, first 2 shown]
	v_sub_f32_e32 v26, v2, v26
	v_fma_f32 v31, v61, 2.0, -v7
	v_sub_f32_e32 v12, v8, v12
	v_fma_f32 v19, v19, 2.0, -v23
	v_fma_f32 v25, v25, 2.0, -v29
	;; [unrolled: 1-line block ×3, first 2 shown]
	v_add_f32_e32 v14, v27, v14
	v_sub_f32_e32 v13, v28, v13
	v_mov_b32_e32 v38, v22
	v_mov_b32_e32 v39, v21
	v_fma_f32 v8, v8, 2.0, -v12
	v_sub_f32_e32 v20, v16, v20
	v_sub_f32_e32 v30, v4, v30
	;; [unrolled: 1-line block ×7, first 2 shown]
	v_add_f32_e32 v12, v7, v12
	v_sub_f32_e32 v23, v26, v23
	v_sub_f32_e32 v11, v25, v11
	v_fmac_f32_e32 v38, 0x3f3504f3, v14
	v_fmac_f32_e32 v39, 0x3f3504f3, v13
	v_fma_f32 v2, v2, 2.0, -v26
	v_fma_f32 v4, v4, 2.0, -v30
	;; [unrolled: 1-line block ×7, first 2 shown]
	v_add_f32_e32 v30, v29, v30
	v_sub_f32_e32 v15, v20, v15
	v_add_f32_e32 v36, v17, v10
	v_sub_f32_e32 v37, v18, v9
	v_fmac_f32_e32 v38, 0x3f3504f3, v13
	v_fmac_f32_e32 v39, 0xbf3504f3, v14
	v_fma_f32 v16, v16, 2.0, -v20
	v_fma_f32 v0, v0, 2.0, -v17
	;; [unrolled: 1-line block ×10, first 2 shown]
	v_mov_b32_e32 v35, v6
	v_fma_f32 v10, v17, 2.0, -v36
	v_fma_f32 v17, v18, 2.0, -v37
	;; [unrolled: 1-line block ×4, first 2 shown]
	v_sub_f32_e32 v21, v31, v25
	v_mov_b32_e32 v22, v7
	v_mov_b32_e32 v25, v26
	v_sub_f32_e32 v8, v2, v8
	v_sub_f32_e32 v32, v0, v3
	v_mov_b32_e32 v34, v5
	v_fmac_f32_e32 v35, 0xbf3504f3, v28
	v_fmac_f32_e32 v22, 0xbf3504f3, v29
	;; [unrolled: 1-line block ×3, first 2 shown]
	v_sub_f32_e32 v4, v16, v4
	v_fma_f32 v3, v0, 2.0, -v32
	v_fmac_f32_e32 v34, 0xbf3504f3, v27
	v_fmac_f32_e32 v35, 0xbf3504f3, v27
	v_fma_f32 v0, v31, 2.0, -v21
	v_fmac_f32_e32 v22, 0x3f3504f3, v20
	v_fmac_f32_e32 v25, 0xbf3504f3, v29
	v_sub_f32_e32 v29, v8, v11
	v_mov_b32_e32 v31, v12
	v_fmac_f32_e32 v34, 0x3f3504f3, v28
	v_fma_f32 v28, v6, 2.0, -v35
	v_fma_f32 v6, v7, 2.0, -v22
	;; [unrolled: 1-line block ×3, first 2 shown]
	v_add_f32_e32 v26, v19, v4
	v_fma_f32 v13, v8, 2.0, -v29
	v_fmac_f32_e32 v31, 0x3f3504f3, v30
	v_mov_b32_e32 v40, v23
	v_mov_b32_e32 v9, v17
	v_fma_f32 v2, v2, 2.0, -v8
	v_fma_f32 v11, v19, 2.0, -v26
	v_fmac_f32_e32 v40, 0x3f3504f3, v15
	v_fmac_f32_e32 v31, 0x3f3504f3, v15
	v_mov_b32_e32 v8, v10
	v_fmac_f32_e32 v9, 0xbf3504f3, v13
	v_sub_f32_e32 v24, v1, v24
	v_fmac_f32_e32 v40, 0xbf3504f3, v30
	v_fma_f32 v15, v12, 2.0, -v31
	v_fmac_f32_e32 v8, 0xbf3504f3, v11
	v_fmac_f32_e32 v9, 0xbf3504f3, v11
	v_mov_b32_e32 v12, v14
	v_fma_f32 v27, v5, 2.0, -v34
	v_fma_f32 v19, v23, 2.0, -v40
	v_mov_b32_e32 v5, v28
	v_fmac_f32_e32 v8, 0x3f3504f3, v13
	v_fma_f32 v11, v17, 2.0, -v9
	v_fmac_f32_e32 v12, 0xbec3ef15, v15
	v_mov_b32_e32 v13, v18
	v_sub_f32_e32 v17, v24, v21
	v_mov_b32_e32 v20, v34
	v_fma_f32 v16, v16, 2.0, -v4
	v_fma_f32 v33, v1, 2.0, -v24
	v_mov_b32_e32 v4, v27
	v_fmac_f32_e32 v5, 0xbf6c835e, v7
	v_fmac_f32_e32 v13, 0xbec3ef15, v19
	;; [unrolled: 1-line block ×3, first 2 shown]
	v_fma_f32 v19, v24, 2.0, -v17
	v_fmac_f32_e32 v20, 0x3ec3ef15, v22
	v_mov_b32_e32 v21, v35
	v_mov_b32_e32 v24, v36
	v_sub_f32_e32 v16, v2, v16
	v_fmac_f32_e32 v4, 0xbf6c835e, v6
	v_fmac_f32_e32 v5, 0xbec3ef15, v6
	;; [unrolled: 1-line block ×5, first 2 shown]
	v_mov_b32_e32 v25, v37
	v_fma_f32 v1, v2, 2.0, -v16
	v_fmac_f32_e32 v4, 0x3ec3ef15, v7
	v_fma_f32 v7, v28, 2.0, -v5
	v_fmac_f32_e32 v25, 0x3f3504f3, v29
	v_fmac_f32_e32 v24, 0x3f3504f3, v29
	v_mov_b32_e32 v28, v38
	v_mov_b32_e32 v29, v39
	v_sub_f32_e32 v0, v3, v0
	v_sub_f32_e32 v1, v33, v1
	v_fmac_f32_e32 v28, 0x3f6c835e, v31
	v_fmac_f32_e32 v29, 0x3f6c835e, v40
	v_fma_f32 v2, v3, 2.0, -v0
	v_fma_f32 v3, v33, 2.0, -v1
	v_fmac_f32_e32 v13, 0xbf6c835e, v15
	v_add_f32_e32 v16, v32, v16
	v_fmac_f32_e32 v21, 0xbf6c835e, v22
	v_fmac_f32_e32 v25, 0xbf3504f3, v26
	;; [unrolled: 1-line block ×4, first 2 shown]
	v_fma_f32 v6, v27, 2.0, -v4
	v_fma_f32 v10, v10, 2.0, -v8
	;; [unrolled: 1-line block ×11, first 2 shown]
	ds_write_b64 v109, v[2:3]
	ds_write2_b64 v99, v[6:7], v[10:11] offset0:34 offset1:68
	ds_write2_b64 v99, v[14:15], v[18:19] offset0:102 offset1:136
	;; [unrolled: 1-line block ×3, first 2 shown]
	v_add_u32_e32 v3, 0x400, v99
	v_add_u32_e32 v2, 0x800, v99
	ds_write2_b64 v3, v[30:31], v[0:1] offset0:110 offset1:144
	ds_write2_b64 v2, v[4:5], v[8:9] offset0:50 offset1:84
	;; [unrolled: 1-line block ×4, first 2 shown]
	ds_write_b64 v99, v[28:29] offset:4080
	s_waitcnt lgkmcnt(0)
	s_barrier
	s_and_b64 exec, exec, vcc
	s_cbranch_execz .LBB0_15
; %bb.14:
	global_load_dwordx2 v[0:1], v94, s[12:13]
	ds_read_b64 v[6:7], v97
	v_mad_u64_u32 v[4:5], s[0:1], s6, v60, 0
	v_mad_u64_u32 v[8:9], s[0:1], s4, v93, 0
	s_waitcnt lgkmcnt(0)
	v_mad_u64_u32 v[10:11], s[2:3], s7, v60, v[5:6]
	s_mov_b32 s0, 0x1e1e1e1e
	s_mov_b32 s1, 0x3f5e1e1e
	v_mad_u64_u32 v[11:12], s[2:3], s5, v93, v[9:10]
	v_mov_b32_e32 v13, s15
	v_mov_b32_e32 v9, v11
	s_waitcnt vmcnt(0)
	v_mul_f32_e32 v5, v7, v1
	v_mul_f32_e32 v1, v6, v1
	v_fmac_f32_e32 v5, v6, v0
	v_fma_f32 v6, v0, v7, -v1
	v_cvt_f64_f32_e32 v[0:1], v5
	v_cvt_f64_f32_e32 v[6:7], v6
	v_mov_b32_e32 v5, v10
	v_mul_f64 v[10:11], v[0:1], s[0:1]
	v_mul_f64 v[6:7], v[6:7], s[0:1]
	v_lshlrev_b64 v[0:1], 3, v[4:5]
	v_lshlrev_b64 v[4:5], 3, v[8:9]
	v_add_co_u32_e32 v0, vcc, s14, v0
	v_addc_co_u32_e32 v1, vcc, v13, v1, vcc
	v_cvt_f32_f64_e32 v8, v[10:11]
	v_cvt_f32_f64_e32 v9, v[6:7]
	v_add_co_u32_e32 v4, vcc, v0, v4
	v_addc_co_u32_e32 v5, vcc, v1, v5, vcc
	global_store_dwordx2 v[4:5], v[8:9], off
	global_load_dwordx2 v[8:9], v94, s[12:13] offset:256
	ds_read2_b64 v[4:7], v99 offset0:32 offset1:64
	v_mad_u64_u32 v[10:11], s[2:3], s4, v96, 0
	s_waitcnt vmcnt(0) lgkmcnt(0)
	v_mul_f32_e32 v12, v5, v9
	v_mul_f32_e32 v9, v4, v9
	v_fmac_f32_e32 v12, v4, v8
	v_fma_f32 v8, v8, v5, -v9
	v_cvt_f64_f32_e32 v[4:5], v12
	v_cvt_f64_f32_e32 v[8:9], v8
	v_mad_u64_u32 v[11:12], s[2:3], s5, v96, v[11:12]
	v_mul_f64 v[4:5], v[4:5], s[0:1]
	v_mul_f64 v[8:9], v[8:9], s[0:1]
	v_lshlrev_b64 v[10:11], 3, v[10:11]
	v_or_b32_e32 v12, 0x60, v93
	v_cvt_f32_f64_e32 v4, v[4:5]
	v_cvt_f32_f64_e32 v5, v[8:9]
	v_add_co_u32_e32 v8, vcc, v0, v10
	v_addc_co_u32_e32 v9, vcc, v1, v11, vcc
	global_store_dwordx2 v[8:9], v[4:5], off
	global_load_dwordx2 v[4:5], v94, s[12:13] offset:512
	v_mad_u64_u32 v[8:9], s[2:3], s4, v95, 0
	s_waitcnt vmcnt(0)
	v_mul_f32_e32 v10, v7, v5
	v_mul_f32_e32 v5, v6, v5
	v_fmac_f32_e32 v10, v6, v4
	v_fma_f32 v6, v4, v7, -v5
	v_cvt_f64_f32_e32 v[4:5], v10
	v_cvt_f64_f32_e32 v[6:7], v6
	v_mad_u64_u32 v[9:10], s[2:3], s5, v95, v[9:10]
	v_mul_f64 v[4:5], v[4:5], s[0:1]
	v_mul_f64 v[6:7], v[6:7], s[0:1]
	v_lshlrev_b64 v[8:9], 3, v[8:9]
	v_mad_u64_u32 v[10:11], s[2:3], s4, v12, 0
	v_mad_u64_u32 v[11:12], s[2:3], s5, v12, v[11:12]
	v_cvt_f32_f64_e32 v4, v[4:5]
	v_cvt_f32_f64_e32 v5, v[6:7]
	v_add_co_u32_e32 v6, vcc, v0, v8
	v_addc_co_u32_e32 v7, vcc, v1, v9, vcc
	global_store_dwordx2 v[6:7], v[4:5], off
	global_load_dwordx2 v[8:9], v94, s[12:13] offset:768
	ds_read2_b64 v[4:7], v99 offset0:96 offset1:128
	v_lshlrev_b64 v[10:11], 3, v[10:11]
	v_or_b32_e32 v12, 0xa0, v93
	s_waitcnt vmcnt(0) lgkmcnt(0)
	v_mul_f32_e32 v13, v5, v9
	v_mul_f32_e32 v9, v4, v9
	v_fmac_f32_e32 v13, v4, v8
	v_fma_f32 v8, v8, v5, -v9
	v_cvt_f64_f32_e32 v[4:5], v13
	v_cvt_f64_f32_e32 v[8:9], v8
	v_mul_f64 v[4:5], v[4:5], s[0:1]
	v_mul_f64 v[8:9], v[8:9], s[0:1]
	v_cvt_f32_f64_e32 v4, v[4:5]
	v_cvt_f32_f64_e32 v5, v[8:9]
	v_add_co_u32_e32 v8, vcc, v0, v10
	v_addc_co_u32_e32 v9, vcc, v1, v11, vcc
	global_store_dwordx2 v[8:9], v[4:5], off
	global_load_dwordx2 v[4:5], v94, s[12:13] offset:1024
	v_or_b32_e32 v10, 0x80, v93
	v_mad_u64_u32 v[8:9], s[2:3], s4, v10, 0
	v_mad_u64_u32 v[9:10], s[2:3], s5, v10, v[9:10]
	v_lshlrev_b64 v[8:9], 3, v[8:9]
	s_waitcnt vmcnt(0)
	v_mul_f32_e32 v11, v7, v5
	v_mul_f32_e32 v5, v6, v5
	v_fmac_f32_e32 v11, v6, v4
	v_fma_f32 v6, v4, v7, -v5
	v_cvt_f64_f32_e32 v[4:5], v11
	v_cvt_f64_f32_e32 v[6:7], v6
	v_mad_u64_u32 v[10:11], s[2:3], s4, v12, 0
	v_mul_f64 v[4:5], v[4:5], s[0:1]
	v_mul_f64 v[6:7], v[6:7], s[0:1]
	v_mad_u64_u32 v[11:12], s[2:3], s5, v12, v[11:12]
	v_lshlrev_b64 v[10:11], 3, v[10:11]
	v_cvt_f32_f64_e32 v4, v[4:5]
	v_cvt_f32_f64_e32 v5, v[6:7]
	v_add_co_u32_e32 v6, vcc, v0, v8
	v_addc_co_u32_e32 v7, vcc, v1, v9, vcc
	global_store_dwordx2 v[6:7], v[4:5], off
	global_load_dwordx2 v[8:9], v94, s[12:13] offset:1280
	ds_read2_b64 v[4:7], v99 offset0:160 offset1:192
	s_waitcnt vmcnt(0) lgkmcnt(0)
	v_mul_f32_e32 v13, v5, v9
	v_mul_f32_e32 v9, v4, v9
	v_fmac_f32_e32 v13, v4, v8
	v_fma_f32 v8, v8, v5, -v9
	v_cvt_f64_f32_e32 v[4:5], v13
	v_cvt_f64_f32_e32 v[8:9], v8
	v_mul_f64 v[4:5], v[4:5], s[0:1]
	v_mul_f64 v[8:9], v[8:9], s[0:1]
	v_cvt_f32_f64_e32 v4, v[4:5]
	v_cvt_f32_f64_e32 v5, v[8:9]
	v_add_co_u32_e32 v8, vcc, v0, v10
	v_addc_co_u32_e32 v9, vcc, v1, v11, vcc
	global_store_dwordx2 v[8:9], v[4:5], off
	global_load_dwordx2 v[4:5], v94, s[12:13] offset:1536
	v_or_b32_e32 v10, 0xc0, v93
	v_mad_u64_u32 v[8:9], s[2:3], s4, v10, 0
	v_mad_u64_u32 v[9:10], s[2:3], s5, v10, v[9:10]
	v_lshlrev_b64 v[8:9], 3, v[8:9]
	s_waitcnt vmcnt(0)
	v_mul_f32_e32 v11, v7, v5
	v_mul_f32_e32 v5, v6, v5
	v_fmac_f32_e32 v11, v6, v4
	v_fma_f32 v6, v4, v7, -v5
	v_cvt_f64_f32_e32 v[4:5], v11
	v_cvt_f64_f32_e32 v[6:7], v6
	v_or_b32_e32 v11, 0xe0, v93
	v_mul_f64 v[4:5], v[4:5], s[0:1]
	v_mul_f64 v[6:7], v[6:7], s[0:1]
	v_cvt_f32_f64_e32 v4, v[4:5]
	v_cvt_f32_f64_e32 v5, v[6:7]
	v_add_co_u32_e32 v6, vcc, v0, v8
	v_addc_co_u32_e32 v7, vcc, v1, v9, vcc
	global_store_dwordx2 v[6:7], v[4:5], off
	global_load_dwordx2 v[7:8], v94, s[12:13] offset:1792
	ds_read2_b64 v[3:6], v3 offset0:96 offset1:128
	v_mad_u64_u32 v[9:10], s[2:3], s4, v11, 0
	v_mad_u64_u32 v[10:11], s[2:3], s5, v11, v[10:11]
	v_or_b32_e32 v11, 0x120, v93
	v_lshlrev_b64 v[9:10], 3, v[9:10]
	s_waitcnt vmcnt(0) lgkmcnt(0)
	v_mul_f32_e32 v12, v4, v8
	v_mul_f32_e32 v8, v3, v8
	v_fmac_f32_e32 v12, v3, v7
	v_fma_f32 v7, v7, v4, -v8
	v_cvt_f64_f32_e32 v[3:4], v12
	v_cvt_f64_f32_e32 v[7:8], v7
	v_mul_f64 v[3:4], v[3:4], s[0:1]
	v_mul_f64 v[7:8], v[7:8], s[0:1]
	v_cvt_f32_f64_e32 v3, v[3:4]
	v_cvt_f32_f64_e32 v4, v[7:8]
	v_add_co_u32_e32 v7, vcc, v0, v9
	v_addc_co_u32_e32 v8, vcc, v1, v10, vcc
	global_store_dwordx2 v[7:8], v[3:4], off
	global_load_dwordx2 v[3:4], v94, s[12:13] offset:2048
	v_or_b32_e32 v9, 0x100, v93
	v_mad_u64_u32 v[7:8], s[2:3], s4, v9, 0
	v_mad_u64_u32 v[8:9], s[2:3], s5, v9, v[8:9]
	v_lshlrev_b64 v[7:8], 3, v[7:8]
	s_waitcnt vmcnt(0)
	v_mul_f32_e32 v10, v6, v4
	v_mul_f32_e32 v4, v5, v4
	v_fmac_f32_e32 v10, v5, v3
	v_fma_f32 v5, v3, v6, -v4
	v_cvt_f64_f32_e32 v[3:4], v10
	v_cvt_f64_f32_e32 v[5:6], v5
	v_mad_u64_u32 v[9:10], s[2:3], s4, v11, 0
	v_mul_f64 v[3:4], v[3:4], s[0:1]
	v_mul_f64 v[5:6], v[5:6], s[0:1]
	v_mad_u64_u32 v[10:11], s[2:3], s5, v11, v[10:11]
	v_or_b32_e32 v11, 0x160, v93
	v_lshlrev_b64 v[9:10], 3, v[9:10]
	v_cvt_f32_f64_e32 v3, v[3:4]
	v_cvt_f32_f64_e32 v4, v[5:6]
	v_add_co_u32_e32 v5, vcc, v0, v7
	v_addc_co_u32_e32 v6, vcc, v1, v8, vcc
	global_store_dwordx2 v[5:6], v[3:4], off
	global_load_dwordx2 v[7:8], v94, s[12:13] offset:2304
	ds_read2_b64 v[3:6], v2 offset0:32 offset1:64
	s_waitcnt vmcnt(0) lgkmcnt(0)
	v_mul_f32_e32 v12, v4, v8
	v_mul_f32_e32 v8, v3, v8
	v_fmac_f32_e32 v12, v3, v7
	v_fma_f32 v7, v7, v4, -v8
	v_cvt_f64_f32_e32 v[3:4], v12
	v_cvt_f64_f32_e32 v[7:8], v7
	v_mul_f64 v[3:4], v[3:4], s[0:1]
	v_mul_f64 v[7:8], v[7:8], s[0:1]
	v_cvt_f32_f64_e32 v3, v[3:4]
	v_cvt_f32_f64_e32 v4, v[7:8]
	v_add_co_u32_e32 v7, vcc, v0, v9
	v_addc_co_u32_e32 v8, vcc, v1, v10, vcc
	global_store_dwordx2 v[7:8], v[3:4], off
	global_load_dwordx2 v[3:4], v94, s[12:13] offset:2560
	v_or_b32_e32 v9, 0x140, v93
	v_mad_u64_u32 v[7:8], s[2:3], s4, v9, 0
	v_mad_u64_u32 v[8:9], s[2:3], s5, v9, v[8:9]
	v_lshlrev_b64 v[7:8], 3, v[7:8]
	s_waitcnt vmcnt(0)
	v_mul_f32_e32 v10, v6, v4
	v_mul_f32_e32 v4, v5, v4
	v_fmac_f32_e32 v10, v5, v3
	v_fma_f32 v5, v3, v6, -v4
	v_cvt_f64_f32_e32 v[3:4], v10
	v_cvt_f64_f32_e32 v[5:6], v5
	v_mad_u64_u32 v[9:10], s[2:3], s4, v11, 0
	v_mul_f64 v[3:4], v[3:4], s[0:1]
	v_mul_f64 v[5:6], v[5:6], s[0:1]
	v_mad_u64_u32 v[10:11], s[2:3], s5, v11, v[10:11]
	v_lshlrev_b64 v[9:10], 3, v[9:10]
	v_cvt_f32_f64_e32 v3, v[3:4]
	v_cvt_f32_f64_e32 v4, v[5:6]
	v_add_co_u32_e32 v5, vcc, v0, v7
	v_addc_co_u32_e32 v6, vcc, v1, v8, vcc
	global_store_dwordx2 v[5:6], v[3:4], off
	global_load_dwordx2 v[7:8], v94, s[12:13] offset:2816
	ds_read2_b64 v[3:6], v2 offset0:96 offset1:128
	s_waitcnt vmcnt(0) lgkmcnt(0)
	v_mul_f32_e32 v12, v4, v8
	v_mul_f32_e32 v8, v3, v8
	v_fmac_f32_e32 v12, v3, v7
	v_fma_f32 v7, v7, v4, -v8
	v_cvt_f64_f32_e32 v[3:4], v12
	v_cvt_f64_f32_e32 v[7:8], v7
	v_mul_f64 v[3:4], v[3:4], s[0:1]
	v_mul_f64 v[7:8], v[7:8], s[0:1]
	v_cvt_f32_f64_e32 v3, v[3:4]
	v_cvt_f32_f64_e32 v4, v[7:8]
	v_add_co_u32_e32 v7, vcc, v0, v9
	v_addc_co_u32_e32 v8, vcc, v1, v10, vcc
	global_store_dwordx2 v[7:8], v[3:4], off
	global_load_dwordx2 v[3:4], v94, s[12:13] offset:3072
	v_or_b32_e32 v9, 0x180, v93
	v_mad_u64_u32 v[7:8], s[2:3], s4, v9, 0
	v_mad_u64_u32 v[8:9], s[2:3], s5, v9, v[8:9]
	v_lshlrev_b64 v[7:8], 3, v[7:8]
	s_waitcnt vmcnt(0)
	v_mul_f32_e32 v10, v6, v4
	v_mul_f32_e32 v4, v5, v4
	v_fmac_f32_e32 v10, v5, v3
	v_fma_f32 v5, v3, v6, -v4
	v_cvt_f64_f32_e32 v[3:4], v10
	v_cvt_f64_f32_e32 v[5:6], v5
	v_or_b32_e32 v10, 0x1a0, v93
	v_mul_f64 v[3:4], v[3:4], s[0:1]
	v_mul_f64 v[5:6], v[5:6], s[0:1]
	v_cvt_f32_f64_e32 v3, v[3:4]
	v_cvt_f32_f64_e32 v4, v[5:6]
	v_add_co_u32_e32 v5, vcc, v0, v7
	v_addc_co_u32_e32 v6, vcc, v1, v8, vcc
	global_store_dwordx2 v[5:6], v[3:4], off
	global_load_dwordx2 v[6:7], v94, s[12:13] offset:3328
	ds_read2_b64 v[2:5], v2 offset0:160 offset1:192
	v_mad_u64_u32 v[8:9], s[2:3], s4, v10, 0
	v_mad_u64_u32 v[9:10], s[2:3], s5, v10, v[9:10]
	v_or_b32_e32 v10, 0x1e0, v93
	v_lshlrev_b64 v[8:9], 3, v[8:9]
	s_waitcnt vmcnt(0) lgkmcnt(0)
	v_mul_f32_e32 v11, v3, v7
	v_mul_f32_e32 v7, v2, v7
	v_fmac_f32_e32 v11, v2, v6
	v_fma_f32 v6, v6, v3, -v7
	v_cvt_f64_f32_e32 v[2:3], v11
	v_cvt_f64_f32_e32 v[6:7], v6
	v_mul_f64 v[2:3], v[2:3], s[0:1]
	v_mul_f64 v[6:7], v[6:7], s[0:1]
	v_cvt_f32_f64_e32 v2, v[2:3]
	v_cvt_f32_f64_e32 v3, v[6:7]
	v_add_co_u32_e32 v6, vcc, v0, v8
	v_addc_co_u32_e32 v7, vcc, v1, v9, vcc
	global_store_dwordx2 v[6:7], v[2:3], off
	global_load_dwordx2 v[2:3], v94, s[12:13] offset:3584
	v_or_b32_e32 v8, 0x1c0, v93
	v_mad_u64_u32 v[6:7], s[2:3], s4, v8, 0
	v_mad_u64_u32 v[7:8], s[2:3], s5, v8, v[7:8]
	v_lshlrev_b64 v[6:7], 3, v[6:7]
	s_waitcnt vmcnt(0)
	v_mul_f32_e32 v9, v5, v3
	v_mul_f32_e32 v3, v4, v3
	v_fmac_f32_e32 v9, v4, v2
	v_fma_f32 v4, v2, v5, -v3
	v_cvt_f64_f32_e32 v[2:3], v9
	v_cvt_f64_f32_e32 v[4:5], v4
	v_mad_u64_u32 v[8:9], s[2:3], s4, v10, 0
	v_mul_f64 v[2:3], v[2:3], s[0:1]
	v_mul_f64 v[4:5], v[4:5], s[0:1]
	v_mad_u64_u32 v[9:10], s[2:3], s5, v10, v[9:10]
	v_or_b32_e32 v10, 0x200, v93
	v_lshlrev_b64 v[8:9], 3, v[8:9]
	v_cvt_f32_f64_e32 v2, v[2:3]
	v_cvt_f32_f64_e32 v3, v[4:5]
	v_add_co_u32_e32 v4, vcc, v0, v6
	v_addc_co_u32_e32 v5, vcc, v1, v7, vcc
	global_store_dwordx2 v[4:5], v[2:3], off
	global_load_dwordx2 v[6:7], v94, s[12:13] offset:3840
	v_add_u32_e32 v2, 0xc00, v99
	ds_read2_b64 v[2:5], v2 offset0:96 offset1:128
	s_waitcnt vmcnt(0) lgkmcnt(0)
	v_mul_f32_e32 v11, v3, v7
	v_mul_f32_e32 v7, v2, v7
	v_fmac_f32_e32 v11, v2, v6
	v_fma_f32 v6, v6, v3, -v7
	v_cvt_f64_f32_e32 v[2:3], v11
	v_cvt_f64_f32_e32 v[6:7], v6
	v_lshlrev_b32_e32 v11, 3, v10
	v_mul_f64 v[2:3], v[2:3], s[0:1]
	v_mul_f64 v[6:7], v[6:7], s[0:1]
	v_cvt_f32_f64_e32 v2, v[2:3]
	v_cvt_f32_f64_e32 v3, v[6:7]
	v_add_co_u32_e32 v6, vcc, v0, v8
	v_addc_co_u32_e32 v7, vcc, v1, v9, vcc
	global_store_dwordx2 v[6:7], v[2:3], off
	global_load_dwordx2 v[2:3], v11, s[12:13]
	v_mad_u64_u32 v[6:7], s[2:3], s4, v10, 0
	s_waitcnt vmcnt(0)
	v_mul_f32_e32 v8, v5, v3
	v_mul_f32_e32 v3, v4, v3
	v_fmac_f32_e32 v8, v4, v2
	v_fma_f32 v4, v2, v5, -v3
	v_cvt_f64_f32_e32 v[2:3], v8
	v_cvt_f64_f32_e32 v[4:5], v4
	v_mul_f64 v[2:3], v[2:3], s[0:1]
	v_mul_f64 v[4:5], v[4:5], s[0:1]
	v_mad_u64_u32 v[7:8], s[0:1], s5, v10, v[7:8]
	v_lshlrev_b64 v[6:7], 3, v[6:7]
	v_cvt_f32_f64_e32 v2, v[2:3]
	v_cvt_f32_f64_e32 v3, v[4:5]
	v_add_co_u32_e32 v0, vcc, v0, v6
	v_addc_co_u32_e32 v1, vcc, v1, v7, vcc
	global_store_dwordx2 v[0:1], v[2:3], off
.LBB0_15:
	s_endpgm
	.section	.rodata,"a",@progbits
	.p2align	6, 0x0
	.amdhsa_kernel bluestein_single_back_len544_dim1_sp_op_CI_CI
		.amdhsa_group_segment_fixed_size 13056
		.amdhsa_private_segment_fixed_size 0
		.amdhsa_kernarg_size 104
		.amdhsa_user_sgpr_count 6
		.amdhsa_user_sgpr_private_segment_buffer 1
		.amdhsa_user_sgpr_dispatch_ptr 0
		.amdhsa_user_sgpr_queue_ptr 0
		.amdhsa_user_sgpr_kernarg_segment_ptr 1
		.amdhsa_user_sgpr_dispatch_id 0
		.amdhsa_user_sgpr_flat_scratch_init 0
		.amdhsa_user_sgpr_private_segment_size 0
		.amdhsa_uses_dynamic_stack 0
		.amdhsa_system_sgpr_private_segment_wavefront_offset 0
		.amdhsa_system_sgpr_workgroup_id_x 1
		.amdhsa_system_sgpr_workgroup_id_y 0
		.amdhsa_system_sgpr_workgroup_id_z 0
		.amdhsa_system_sgpr_workgroup_info 0
		.amdhsa_system_vgpr_workitem_id 0
		.amdhsa_next_free_vgpr 239
		.amdhsa_next_free_sgpr 18
		.amdhsa_reserve_vcc 1
		.amdhsa_reserve_flat_scratch 0
		.amdhsa_float_round_mode_32 0
		.amdhsa_float_round_mode_16_64 0
		.amdhsa_float_denorm_mode_32 3
		.amdhsa_float_denorm_mode_16_64 3
		.amdhsa_dx10_clamp 1
		.amdhsa_ieee_mode 1
		.amdhsa_fp16_overflow 0
		.amdhsa_exception_fp_ieee_invalid_op 0
		.amdhsa_exception_fp_denorm_src 0
		.amdhsa_exception_fp_ieee_div_zero 0
		.amdhsa_exception_fp_ieee_overflow 0
		.amdhsa_exception_fp_ieee_underflow 0
		.amdhsa_exception_fp_ieee_inexact 0
		.amdhsa_exception_int_div_zero 0
	.end_amdhsa_kernel
	.text
.Lfunc_end0:
	.size	bluestein_single_back_len544_dim1_sp_op_CI_CI, .Lfunc_end0-bluestein_single_back_len544_dim1_sp_op_CI_CI
                                        ; -- End function
	.section	.AMDGPU.csdata,"",@progbits
; Kernel info:
; codeLenInByte = 19704
; NumSgprs: 22
; NumVgprs: 239
; ScratchSize: 0
; MemoryBound: 0
; FloatMode: 240
; IeeeMode: 1
; LDSByteSize: 13056 bytes/workgroup (compile time only)
; SGPRBlocks: 2
; VGPRBlocks: 59
; NumSGPRsForWavesPerEU: 22
; NumVGPRsForWavesPerEU: 239
; Occupancy: 1
; WaveLimiterHint : 1
; COMPUTE_PGM_RSRC2:SCRATCH_EN: 0
; COMPUTE_PGM_RSRC2:USER_SGPR: 6
; COMPUTE_PGM_RSRC2:TRAP_HANDLER: 0
; COMPUTE_PGM_RSRC2:TGID_X_EN: 1
; COMPUTE_PGM_RSRC2:TGID_Y_EN: 0
; COMPUTE_PGM_RSRC2:TGID_Z_EN: 0
; COMPUTE_PGM_RSRC2:TIDIG_COMP_CNT: 0
	.type	__hip_cuid_53108263d1d1c5,@object ; @__hip_cuid_53108263d1d1c5
	.section	.bss,"aw",@nobits
	.globl	__hip_cuid_53108263d1d1c5
__hip_cuid_53108263d1d1c5:
	.byte	0                               ; 0x0
	.size	__hip_cuid_53108263d1d1c5, 1

	.ident	"AMD clang version 19.0.0git (https://github.com/RadeonOpenCompute/llvm-project roc-6.4.0 25133 c7fe45cf4b819c5991fe208aaa96edf142730f1d)"
	.section	".note.GNU-stack","",@progbits
	.addrsig
	.addrsig_sym __hip_cuid_53108263d1d1c5
	.amdgpu_metadata
---
amdhsa.kernels:
  - .args:
      - .actual_access:  read_only
        .address_space:  global
        .offset:         0
        .size:           8
        .value_kind:     global_buffer
      - .actual_access:  read_only
        .address_space:  global
        .offset:         8
        .size:           8
        .value_kind:     global_buffer
      - .actual_access:  read_only
        .address_space:  global
        .offset:         16
        .size:           8
        .value_kind:     global_buffer
      - .actual_access:  read_only
        .address_space:  global
        .offset:         24
        .size:           8
        .value_kind:     global_buffer
      - .actual_access:  read_only
        .address_space:  global
        .offset:         32
        .size:           8
        .value_kind:     global_buffer
      - .offset:         40
        .size:           8
        .value_kind:     by_value
      - .address_space:  global
        .offset:         48
        .size:           8
        .value_kind:     global_buffer
      - .address_space:  global
        .offset:         56
        .size:           8
        .value_kind:     global_buffer
      - .address_space:  global
        .offset:         64
        .size:           8
        .value_kind:     global_buffer
      - .address_space:  global
        .offset:         72
        .size:           8
        .value_kind:     global_buffer
      - .offset:         80
        .size:           4
        .value_kind:     by_value
      - .address_space:  global
        .offset:         88
        .size:           8
        .value_kind:     global_buffer
      - .address_space:  global
        .offset:         96
        .size:           8
        .value_kind:     global_buffer
    .group_segment_fixed_size: 13056
    .kernarg_segment_align: 8
    .kernarg_segment_size: 104
    .language:       OpenCL C
    .language_version:
      - 2
      - 0
    .max_flat_workgroup_size: 102
    .name:           bluestein_single_back_len544_dim1_sp_op_CI_CI
    .private_segment_fixed_size: 0
    .sgpr_count:     22
    .sgpr_spill_count: 0
    .symbol:         bluestein_single_back_len544_dim1_sp_op_CI_CI.kd
    .uniform_work_group_size: 1
    .uses_dynamic_stack: false
    .vgpr_count:     239
    .vgpr_spill_count: 0
    .wavefront_size: 64
amdhsa.target:   amdgcn-amd-amdhsa--gfx906
amdhsa.version:
  - 1
  - 2
...

	.end_amdgpu_metadata
